;; amdgpu-corpus repo=ROCm/rocFFT kind=compiled arch=gfx950 opt=O3
	.text
	.amdgcn_target "amdgcn-amd-amdhsa--gfx950"
	.amdhsa_code_object_version 6
	.protected	fft_rtc_back_len1764_factors_2_2_3_3_7_7_wgs_126_tpt_126_halfLds_sp_op_CI_CI_unitstride_sbrr_R2C_dirReg ; -- Begin function fft_rtc_back_len1764_factors_2_2_3_3_7_7_wgs_126_tpt_126_halfLds_sp_op_CI_CI_unitstride_sbrr_R2C_dirReg
	.globl	fft_rtc_back_len1764_factors_2_2_3_3_7_7_wgs_126_tpt_126_halfLds_sp_op_CI_CI_unitstride_sbrr_R2C_dirReg
	.p2align	8
	.type	fft_rtc_back_len1764_factors_2_2_3_3_7_7_wgs_126_tpt_126_halfLds_sp_op_CI_CI_unitstride_sbrr_R2C_dirReg,@function
fft_rtc_back_len1764_factors_2_2_3_3_7_7_wgs_126_tpt_126_halfLds_sp_op_CI_CI_unitstride_sbrr_R2C_dirReg: ; @fft_rtc_back_len1764_factors_2_2_3_3_7_7_wgs_126_tpt_126_halfLds_sp_op_CI_CI_unitstride_sbrr_R2C_dirReg
; %bb.0:
	s_load_dwordx4 s[4:7], s[0:1], 0x58
	s_load_dwordx4 s[8:11], s[0:1], 0x0
	;; [unrolled: 1-line block ×3, first 2 shown]
	v_mul_u32_u24_e32 v1, 0x209, v0
	v_add_u32_sdwa v6, s2, v1 dst_sel:DWORD dst_unused:UNUSED_PAD src0_sel:DWORD src1_sel:WORD_1
	v_mov_b32_e32 v4, 0
	s_waitcnt lgkmcnt(0)
	v_cmp_lt_u64_e64 s[2:3], s[10:11], 2
	v_mov_b32_e32 v7, v4
	s_and_b64 vcc, exec, s[2:3]
	v_mov_b64_e32 v[2:3], 0
	s_cbranch_vccnz .LBB0_8
; %bb.1:
	s_load_dwordx2 s[2:3], s[0:1], 0x10
	s_add_u32 s16, s14, 8
	s_addc_u32 s17, s15, 0
	s_add_u32 s18, s12, 8
	s_addc_u32 s19, s13, 0
	s_waitcnt lgkmcnt(0)
	s_add_u32 s20, s2, 8
	v_mov_b64_e32 v[2:3], 0
	s_addc_u32 s21, s3, 0
	s_mov_b64 s[22:23], 1
	v_mov_b64_e32 v[16:17], v[2:3]
.LBB0_2:                                ; =>This Inner Loop Header: Depth=1
	s_load_dwordx2 s[24:25], s[20:21], 0x0
                                        ; implicit-def: $vgpr18_vgpr19
	s_waitcnt lgkmcnt(0)
	v_or_b32_e32 v5, s25, v7
	v_cmp_ne_u64_e32 vcc, 0, v[4:5]
	s_and_saveexec_b64 s[2:3], vcc
	s_xor_b64 s[26:27], exec, s[2:3]
	s_cbranch_execz .LBB0_4
; %bb.3:                                ;   in Loop: Header=BB0_2 Depth=1
	v_cvt_f32_u32_e32 v1, s24
	v_cvt_f32_u32_e32 v5, s25
	s_sub_u32 s2, 0, s24
	s_subb_u32 s3, 0, s25
	v_fmac_f32_e32 v1, 0x4f800000, v5
	v_rcp_f32_e32 v1, v1
	s_nop 0
	v_mul_f32_e32 v1, 0x5f7ffffc, v1
	v_mul_f32_e32 v5, 0x2f800000, v1
	v_trunc_f32_e32 v5, v5
	v_fmac_f32_e32 v1, 0xcf800000, v5
	v_cvt_u32_f32_e32 v5, v5
	v_cvt_u32_f32_e32 v1, v1
	v_mul_lo_u32 v8, s2, v5
	v_mul_hi_u32 v10, s2, v1
	v_mul_lo_u32 v9, s3, v1
	v_add_u32_e32 v10, v10, v8
	v_mul_lo_u32 v12, s2, v1
	v_add_u32_e32 v13, v10, v9
	v_mul_hi_u32 v8, v1, v12
	v_mul_hi_u32 v11, v1, v13
	v_mul_lo_u32 v10, v1, v13
	v_mov_b32_e32 v9, v4
	v_lshl_add_u64 v[8:9], v[8:9], 0, v[10:11]
	v_mul_hi_u32 v11, v5, v12
	v_mul_lo_u32 v12, v5, v12
	v_add_co_u32_e32 v8, vcc, v8, v12
	v_mul_hi_u32 v10, v5, v13
	s_nop 0
	v_addc_co_u32_e32 v8, vcc, v9, v11, vcc
	v_mov_b32_e32 v9, v4
	s_nop 0
	v_addc_co_u32_e32 v11, vcc, 0, v10, vcc
	v_mul_lo_u32 v10, v5, v13
	v_lshl_add_u64 v[8:9], v[8:9], 0, v[10:11]
	v_add_co_u32_e32 v1, vcc, v1, v8
	v_mul_lo_u32 v10, s2, v1
	s_nop 0
	v_addc_co_u32_e32 v5, vcc, v5, v9, vcc
	v_mul_lo_u32 v8, s2, v5
	v_mul_hi_u32 v9, s2, v1
	v_add_u32_e32 v8, v9, v8
	v_mul_lo_u32 v9, s3, v1
	v_add_u32_e32 v12, v8, v9
	v_mul_hi_u32 v14, v5, v10
	v_mul_lo_u32 v15, v5, v10
	v_mul_hi_u32 v9, v1, v12
	v_mul_lo_u32 v8, v1, v12
	v_mul_hi_u32 v10, v1, v10
	v_mov_b32_e32 v11, v4
	v_lshl_add_u64 v[8:9], v[10:11], 0, v[8:9]
	v_add_co_u32_e32 v8, vcc, v8, v15
	v_mul_hi_u32 v13, v5, v12
	s_nop 0
	v_addc_co_u32_e32 v8, vcc, v9, v14, vcc
	v_mul_lo_u32 v10, v5, v12
	s_nop 0
	v_addc_co_u32_e32 v11, vcc, 0, v13, vcc
	v_mov_b32_e32 v9, v4
	v_lshl_add_u64 v[8:9], v[8:9], 0, v[10:11]
	v_add_co_u32_e32 v1, vcc, v1, v8
	v_mul_hi_u32 v10, v6, v1
	s_nop 0
	v_addc_co_u32_e32 v5, vcc, v5, v9, vcc
	v_mad_u64_u32 v[8:9], s[2:3], v6, v5, 0
	v_mov_b32_e32 v11, v4
	v_lshl_add_u64 v[8:9], v[10:11], 0, v[8:9]
	v_mad_u64_u32 v[12:13], s[2:3], v7, v1, 0
	v_add_co_u32_e32 v1, vcc, v8, v12
	v_mad_u64_u32 v[10:11], s[2:3], v7, v5, 0
	s_nop 0
	v_addc_co_u32_e32 v8, vcc, v9, v13, vcc
	v_mov_b32_e32 v9, v4
	s_nop 0
	v_addc_co_u32_e32 v11, vcc, 0, v11, vcc
	v_lshl_add_u64 v[8:9], v[8:9], 0, v[10:11]
	v_mul_lo_u32 v1, s25, v8
	v_mul_lo_u32 v5, s24, v9
	v_mad_u64_u32 v[10:11], s[2:3], s24, v8, 0
	v_add3_u32 v1, v11, v5, v1
	v_sub_u32_e32 v5, v7, v1
	v_mov_b32_e32 v11, s25
	v_sub_co_u32_e32 v14, vcc, v6, v10
	v_lshl_add_u64 v[12:13], v[8:9], 0, 1
	s_nop 0
	v_subb_co_u32_e64 v5, s[2:3], v5, v11, vcc
	v_subrev_co_u32_e64 v10, s[2:3], s24, v14
	v_subb_co_u32_e32 v1, vcc, v7, v1, vcc
	s_nop 0
	v_subbrev_co_u32_e64 v5, s[2:3], 0, v5, s[2:3]
	v_cmp_le_u32_e64 s[2:3], s25, v5
	v_cmp_le_u32_e32 vcc, s25, v1
	s_nop 0
	v_cndmask_b32_e64 v11, 0, -1, s[2:3]
	v_cmp_le_u32_e64 s[2:3], s24, v10
	s_nop 1
	v_cndmask_b32_e64 v10, 0, -1, s[2:3]
	v_cmp_eq_u32_e64 s[2:3], s25, v5
	s_nop 1
	v_cndmask_b32_e64 v5, v11, v10, s[2:3]
	v_lshl_add_u64 v[10:11], v[8:9], 0, 2
	v_cmp_ne_u32_e64 s[2:3], 0, v5
	s_nop 1
	v_cndmask_b32_e64 v5, v13, v11, s[2:3]
	v_cndmask_b32_e64 v11, 0, -1, vcc
	v_cmp_le_u32_e32 vcc, s24, v14
	s_nop 1
	v_cndmask_b32_e64 v13, 0, -1, vcc
	v_cmp_eq_u32_e32 vcc, s25, v1
	s_nop 1
	v_cndmask_b32_e32 v1, v11, v13, vcc
	v_cmp_ne_u32_e32 vcc, 0, v1
	v_cndmask_b32_e64 v1, v12, v10, s[2:3]
	s_nop 0
	v_cndmask_b32_e32 v19, v9, v5, vcc
	v_cndmask_b32_e32 v18, v8, v1, vcc
.LBB0_4:                                ;   in Loop: Header=BB0_2 Depth=1
	s_andn2_saveexec_b64 s[2:3], s[26:27]
	s_cbranch_execz .LBB0_6
; %bb.5:                                ;   in Loop: Header=BB0_2 Depth=1
	v_cvt_f32_u32_e32 v1, s24
	s_sub_i32 s26, 0, s24
	v_mov_b32_e32 v19, v4
	v_rcp_iflag_f32_e32 v1, v1
	s_nop 0
	v_mul_f32_e32 v1, 0x4f7ffffe, v1
	v_cvt_u32_f32_e32 v1, v1
	v_mul_lo_u32 v5, s26, v1
	v_mul_hi_u32 v5, v1, v5
	v_add_u32_e32 v1, v1, v5
	v_mul_hi_u32 v1, v6, v1
	v_mul_lo_u32 v5, v1, s24
	v_sub_u32_e32 v5, v6, v5
	v_add_u32_e32 v8, 1, v1
	v_subrev_u32_e32 v9, s24, v5
	v_cmp_le_u32_e32 vcc, s24, v5
	s_nop 1
	v_cndmask_b32_e32 v5, v5, v9, vcc
	v_cndmask_b32_e32 v1, v1, v8, vcc
	v_add_u32_e32 v8, 1, v1
	v_cmp_le_u32_e32 vcc, s24, v5
	s_nop 1
	v_cndmask_b32_e32 v18, v1, v8, vcc
.LBB0_6:                                ;   in Loop: Header=BB0_2 Depth=1
	s_or_b64 exec, exec, s[2:3]
	v_mad_u64_u32 v[8:9], s[2:3], v18, s24, 0
	s_load_dwordx2 s[2:3], s[18:19], 0x0
	v_mul_lo_u32 v1, v19, s24
	v_mul_lo_u32 v5, v18, s25
	s_load_dwordx2 s[24:25], s[16:17], 0x0
	s_add_u32 s22, s22, 1
	v_add3_u32 v1, v9, v5, v1
	v_sub_co_u32_e32 v5, vcc, v6, v8
	s_addc_u32 s23, s23, 0
	s_nop 0
	v_subb_co_u32_e32 v1, vcc, v7, v1, vcc
	s_add_u32 s16, s16, 8
	s_waitcnt lgkmcnt(0)
	v_mul_lo_u32 v6, s2, v1
	v_mul_lo_u32 v7, s3, v5
	v_mad_u64_u32 v[2:3], s[2:3], s2, v5, v[2:3]
	s_addc_u32 s17, s17, 0
	v_add3_u32 v3, v7, v3, v6
	v_mul_lo_u32 v1, s24, v1
	v_mul_lo_u32 v6, s25, v5
	v_mad_u64_u32 v[16:17], s[2:3], s24, v5, v[16:17]
	s_add_u32 s18, s18, 8
	v_add3_u32 v17, v6, v17, v1
	s_addc_u32 s19, s19, 0
	v_mov_b64_e32 v[6:7], s[10:11]
	s_add_u32 s20, s20, 8
	v_cmp_ge_u64_e32 vcc, s[22:23], v[6:7]
	s_addc_u32 s21, s21, 0
	s_cbranch_vccnz .LBB0_9
; %bb.7:                                ;   in Loop: Header=BB0_2 Depth=1
	v_mov_b64_e32 v[6:7], v[18:19]
	s_branch .LBB0_2
.LBB0_8:
	v_mov_b64_e32 v[16:17], v[2:3]
	v_mov_b64_e32 v[18:19], v[6:7]
.LBB0_9:
	s_load_dwordx2 s[18:19], s[0:1], 0x28
	s_lshl_b64 s[16:17], s[10:11], 3
	s_add_u32 s2, s14, s16
	s_addc_u32 s3, s15, s17
                                        ; implicit-def: $vgpr28_vgpr29
                                        ; implicit-def: $vgpr20
                                        ; implicit-def: $vgpr22
                                        ; implicit-def: $vgpr30
                                        ; implicit-def: $vgpr26
                                        ; implicit-def: $vgpr24
                                        ; implicit-def: $vgpr32
	s_waitcnt lgkmcnt(0)
	v_cmp_gt_u64_e64 s[0:1], s[18:19], v[18:19]
	v_cmp_le_u64_e32 vcc, s[18:19], v[18:19]
	s_and_saveexec_b64 s[10:11], vcc
	s_xor_b64 s[10:11], exec, s[10:11]
; %bb.10:
	s_mov_b32 s14, 0x2082083
	v_mul_hi_u32 v1, v0, s14
	v_mul_u32_u24_e32 v1, 0x7e, v1
	v_sub_u32_e32 v20, v0, v1
	v_add_u32_e32 v29, 0x17a, v20
	v_add_u32_e32 v22, 0x7e, v20
	v_add_u32_e32 v28, 0xfc, v20
	v_add_u32_e32 v30, 0x1f8, v20
	v_add_u32_e32 v26, 0x276, v20
	v_add_u32_e32 v24, 0x2f4, v20
	v_mov_b32_e32 v32, v29
                                        ; implicit-def: $vgpr0
                                        ; implicit-def: $vgpr2_vgpr3
; %bb.11:
	s_andn2_saveexec_b64 s[10:11], s[10:11]
	s_cbranch_execz .LBB0_13
; %bb.12:
	s_add_u32 s12, s12, s16
	s_addc_u32 s13, s13, s17
	s_load_dwordx2 s[12:13], s[12:13], 0x0
	s_mov_b32 s14, 0x2082083
	s_waitcnt lgkmcnt(0)
	v_mul_lo_u32 v1, s13, v18
	v_mul_lo_u32 v6, s12, v19
	v_mad_u64_u32 v[4:5], s[12:13], s12, v18, 0
	v_add3_u32 v5, v5, v6, v1
	v_mul_hi_u32 v1, v0, s14
	v_mul_u32_u24_e32 v1, 0x7e, v1
	v_sub_u32_e32 v20, v0, v1
	v_lshl_add_u64 v[0:1], v[4:5], 3, s[4:5]
	v_lshl_add_u64 v[0:1], v[2:3], 3, v[0:1]
	v_lshlrev_b32_e32 v2, 3, v20
	v_mov_b32_e32 v3, 0
	v_add_u32_e32 v28, 0xfc, v20
	v_lshl_add_u64 v[4:5], v[0:1], 0, v[2:3]
	v_add_u32_e32 v21, 0, v2
	v_add_u32_e32 v29, 0x17a, v20
	v_mov_b32_e32 v2, v28
	v_lshl_add_u64 v[10:11], v[2:3], 3, v[0:1]
	v_mov_b32_e32 v2, v29
	s_movk_i32 s4, 0x1000
	global_load_dwordx2 v[6:7], v[4:5], off
	global_load_dwordx2 v[8:9], v[4:5], off offset:1008
	v_lshl_add_u64 v[0:1], v[2:3], 3, v[0:1]
	global_load_dwordx2 v[2:3], v[10:11], off
	global_load_dwordx2 v[12:13], v[4:5], off offset:4032
	v_add_co_u32_e32 v10, vcc, s4, v4
	s_movk_i32 s4, 0x2000
	s_nop 0
	v_addc_co_u32_e32 v11, vcc, 0, v5, vcc
	global_load_dwordx2 v[14:15], v[0:1], off
	global_load_dwordx2 v[32:33], v[10:11], off offset:944
	global_load_dwordx2 v[34:35], v[10:11], off offset:1952
	;; [unrolled: 1-line block ×3, first 2 shown]
	v_add_co_u32_e32 v0, vcc, s4, v4
	v_add_u32_e32 v22, 0x7e, v20
	s_nop 0
	v_addc_co_u32_e32 v1, vcc, 0, v5, vcc
	v_add_co_u32_e32 v4, vcc, 0x3000, v4
	global_load_dwordx2 v[38:39], v[10:11], off offset:3968
	global_load_dwordx2 v[40:41], v[0:1], off offset:880
	;; [unrolled: 1-line block ×4, first 2 shown]
	v_addc_co_u32_e32 v5, vcc, 0, v5, vcc
	global_load_dwordx2 v[10:11], v[0:1], off offset:3904
	global_load_dwordx2 v[46:47], v[4:5], off offset:816
	v_add_u32_e32 v30, 0x1f8, v20
	v_add_u32_e32 v26, 0x276, v20
	;; [unrolled: 1-line block ×3, first 2 shown]
	v_lshl_add_u32 v0, v28, 3, 0
	v_lshl_add_u32 v1, v29, 3, 0
	v_add_u32_e32 v4, 0xc00, v21
	v_add_u32_e32 v5, 0x1400, v21
	;; [unrolled: 1-line block ×5, first 2 shown]
	s_waitcnt vmcnt(12)
	ds_write2_b64 v21, v[6:7], v[8:9] offset1:126
	s_waitcnt vmcnt(11)
	ds_write_b64 v0, v[2:3]
	s_waitcnt vmcnt(9)
	ds_write_b64 v1, v[14:15]
	s_waitcnt vmcnt(8)
	ds_write2_b64 v4, v[12:13], v[32:33] offset0:120 offset1:246
	s_waitcnt vmcnt(6)
	ds_write2_b64 v5, v[34:35], v[36:37] offset0:116 offset1:242
	;; [unrolled: 2-line block ×5, first 2 shown]
	v_mov_b32_e32 v32, v29
.LBB0_13:
	s_or_b64 exec, exec, s[10:11]
	v_lshlrev_b32_e32 v21, 3, v20
	v_add_u32_e32 v25, 0, v21
	v_add_u32_e32 v50, 0x2c00, v25
	;; [unrolled: 1-line block ×3, first 2 shown]
	s_load_dwordx2 s[4:5], s[2:3], 0x0
	s_waitcnt lgkmcnt(0)
	s_barrier
	ds_read2_b64 v[4:7], v50 offset0:104 offset1:230
	ds_read2_b64 v[8:11], v8 offset0:120 offset1:246
	v_add_u32_e32 v60, 0x2400, v25
	ds_read2_b64 v[12:15], v60 offset0:108 offset1:234
	v_add_u32_e32 v0, 0x1400, v25
	ds_read2_b64 v[0:3], v0 offset0:116 offset1:242
	s_waitcnt lgkmcnt(2)
	v_pk_add_f32 v[40:41], v[10:11], v[4:5] neg_lo:[0,1] neg_hi:[0,1]
	v_add_u32_e32 v4, 0x400, v25
	v_pk_fma_f32 v[42:43], v[10:11], 2.0, v[40:41] op_sel_hi:[1,0,1] neg_lo:[0,0,1] neg_hi:[0,0,1]
	s_waitcnt lgkmcnt(1)
	v_pk_add_f32 v[14:15], v[8:9], v[14:15] neg_lo:[0,1] neg_hi:[0,1]
	v_add_u32_e32 v10, 0x1c00, v25
	ds_read2_b64 v[34:37], v10 offset0:112 offset1:238
	v_pk_fma_f32 v[44:45], v[8:9], 2.0, v[14:15] op_sel_hi:[1,0,1] neg_lo:[0,0,1] neg_hi:[0,0,1]
	ds_read2_b64 v[8:11], v25 offset1:126
	s_waitcnt lgkmcnt(2)
	v_pk_add_f32 v[38:39], v[0:1], v[6:7] neg_lo:[0,1] neg_hi:[0,1]
	ds_read2_b64 v[4:7], v4 offset0:124 offset1:250
	v_add_u32_e32 v23, v25, v21
	v_pk_fma_f32 v[0:1], v[0:1], 2.0, v[38:39] op_sel_hi:[1,0,1] neg_lo:[0,0,1] neg_hi:[0,0,1]
	s_waitcnt lgkmcnt(1)
	v_pk_add_f32 v[2:3], v[8:9], v[2:3] neg_lo:[0,1] neg_hi:[0,1]
	v_pk_add_f32 v[34:35], v[10:11], v[34:35] neg_lo:[0,1] neg_hi:[0,1]
	s_waitcnt lgkmcnt(0)
	v_pk_add_f32 v[12:13], v[6:7], v[12:13] neg_lo:[0,1] neg_hi:[0,1]
	v_pk_add_f32 v[36:37], v[4:5], v[36:37] neg_lo:[0,1] neg_hi:[0,1]
	v_pk_fma_f32 v[8:9], v[8:9], 2.0, v[2:3] op_sel_hi:[1,0,1] neg_lo:[0,0,1] neg_hi:[0,0,1]
	v_and_b32_e32 v61, 1, v20
	v_lshl_add_u32 v51, v22, 4, 0
	v_lshl_add_u32 v53, v28, 4, 0
	;; [unrolled: 1-line block ×6, first 2 shown]
	v_pk_fma_f32 v[6:7], v[6:7], 2.0, v[12:13] op_sel_hi:[1,0,1] neg_lo:[0,0,1] neg_hi:[0,0,1]
	v_pk_fma_f32 v[4:5], v[4:5], 2.0, v[36:37] op_sel_hi:[1,0,1] neg_lo:[0,0,1] neg_hi:[0,0,1]
	;; [unrolled: 1-line block ×3, first 2 shown]
	s_barrier
	ds_write2_b64 v23, v[8:9], v[2:3] offset1:1
	ds_write2_b64 v51, v[10:11], v[34:35] offset1:1
	;; [unrolled: 1-line block ×7, first 2 shown]
	v_lshlrev_b32_e32 v0, 3, v61
	s_waitcnt lgkmcnt(0)
	s_barrier
	global_load_dwordx2 v[12:13], v0, s[8:9]
	v_lshlrev_b32_e32 v0, 1, v20
	v_lshlrev_b32_e32 v62, 3, v30
	;; [unrolled: 1-line block ×4, first 2 shown]
	s_movk_i32 s2, 0xfc
	v_lshlrev_b32_e32 v52, 3, v22
	v_lshlrev_b32_e32 v54, 3, v28
	;; [unrolled: 1-line block ×3, first 2 shown]
	v_sub_u32_e32 v4, v48, v62
	v_sub_u32_e32 v5, v49, v23
	;; [unrolled: 1-line block ×3, first 2 shown]
	v_and_or_b32 v0, v0, s2, v61
	v_add_u32_e32 v7, 0x2000, v25
	v_add_u32_e32 v8, 0x2800, v25
	v_sub_u32_e32 v63, v51, v52
	v_sub_u32_e32 v64, v53, v54
	;; [unrolled: 1-line block ×3, first 2 shown]
	v_add_u32_e32 v66, 0x1800, v25
	v_lshl_add_u32 v67, v0, 3, 0
	ds_read_b64 v[14:15], v25
	ds_read2_b64 v[0:3], v66 offset0:114 offset1:240
	ds_read_b64 v[38:39], v65
	ds_read_b64 v[40:41], v4
	;; [unrolled: 1-line block ×6, first 2 shown]
	ds_read_b64 v[46:47], v25 offset:13104
	ds_read2_b64 v[4:7], v7 offset0:110 offset1:236
	ds_read2_b64 v[8:11], v8 offset0:106 offset1:232
	s_waitcnt lgkmcnt(0)
	s_barrier
	s_movk_i32 s2, 0x1fc
	s_movk_i32 s3, 0x5fc
	;; [unrolled: 1-line block ×3, first 2 shown]
	v_cmp_gt_u32_e32 vcc, s10, v20
	s_waitcnt vmcnt(0)
	v_pk_mul_f32 v[56:57], v[12:13], v[0:1] op_sel:[0,1]
	s_nop 0
	v_pk_fma_f32 v[58:59], v[12:13], v[0:1], v[56:57] op_sel:[0,0,1] op_sel_hi:[1,1,0]
	v_pk_fma_f32 v[0:1], v[12:13], v[0:1], v[56:57] op_sel:[0,0,1] op_sel_hi:[1,0,0] neg_lo:[1,0,0] neg_hi:[1,0,0]
	s_nop 0
	v_mov_b32_e32 v59, v1
	v_pk_add_f32 v[0:1], v[14:15], v[58:59] neg_lo:[0,1] neg_hi:[0,1]
	s_nop 0
	v_pk_fma_f32 v[14:15], v[14:15], 2.0, v[0:1] op_sel_hi:[1,0,1] neg_lo:[0,0,1] neg_hi:[0,0,1]
	ds_write2_b64 v67, v[14:15], v[0:1] offset1:2
	v_pk_mul_f32 v[0:1], v[12:13], v[2:3] op_sel:[0,1]
	s_nop 0
	v_pk_fma_f32 v[14:15], v[12:13], v[2:3], v[0:1] op_sel:[0,0,1] op_sel_hi:[1,1,0]
	v_pk_fma_f32 v[0:1], v[12:13], v[2:3], v[0:1] op_sel:[0,0,1] op_sel_hi:[1,0,0] neg_lo:[1,0,0] neg_hi:[1,0,0]
	s_nop 0
	v_lshlrev_b32_e32 v0, 1, v22
	v_mov_b32_e32 v15, v1
	v_and_or_b32 v0, v0, s2, v61
	v_lshl_add_u32 v56, v0, 3, 0
	v_pk_add_f32 v[0:1], v[34:35], v[14:15] neg_lo:[0,1] neg_hi:[0,1]
	s_movk_i32 s2, 0x3fc
	v_pk_fma_f32 v[2:3], v[34:35], 2.0, v[0:1] op_sel_hi:[1,0,1] neg_lo:[0,0,1] neg_hi:[0,0,1]
	ds_write2_b64 v56, v[2:3], v[0:1] offset1:2
	v_pk_mul_f32 v[0:1], v[12:13], v[10:11] op_sel:[0,1]
	s_nop 0
	v_pk_fma_f32 v[2:3], v[12:13], v[10:11], v[0:1] op_sel:[0,0,1] op_sel_hi:[1,1,0]
	v_pk_fma_f32 v[0:1], v[12:13], v[10:11], v[0:1] op_sel:[0,0,1] op_sel_hi:[1,0,0] neg_lo:[1,0,0] neg_hi:[1,0,0]
	v_pk_mul_f32 v[10:11], v[12:13], v[8:9] op_sel:[0,1]
	v_lshlrev_b32_e32 v0, 1, v28
	v_pk_fma_f32 v[14:15], v[12:13], v[8:9], v[10:11] op_sel:[0,0,1] op_sel_hi:[1,1,0]
	v_pk_fma_f32 v[8:9], v[12:13], v[8:9], v[10:11] op_sel:[0,0,1] op_sel_hi:[1,0,0] neg_lo:[1,0,0] neg_hi:[1,0,0]
	v_pk_mul_f32 v[10:11], v[12:13], v[6:7] op_sel:[0,1]
	v_mov_b32_e32 v3, v1
	v_pk_fma_f32 v[56:57], v[12:13], v[6:7], v[10:11] op_sel:[0,0,1] op_sel_hi:[1,1,0]
	v_pk_fma_f32 v[6:7], v[12:13], v[6:7], v[10:11] op_sel:[0,0,1] op_sel_hi:[1,0,0] neg_lo:[1,0,0] neg_hi:[1,0,0]
	v_pk_mul_f32 v[10:11], v[12:13], v[4:5] op_sel:[0,1]
	v_lshlrev_b32_e32 v1, 1, v32
	v_pk_fma_f32 v[58:59], v[12:13], v[4:5], v[10:11] op_sel:[0,0,1] op_sel_hi:[1,1,0]
	v_pk_fma_f32 v[4:5], v[12:13], v[4:5], v[10:11] op_sel:[0,0,1] op_sel_hi:[1,0,0] neg_lo:[1,0,0] neg_hi:[1,0,0]
	v_pk_mul_f32 v[10:11], v[12:13], v[46:47] op_sel:[0,1]
	v_and_or_b32 v0, v0, s2, v61
	v_pk_fma_f32 v[34:35], v[12:13], v[46:47], v[10:11] op_sel:[0,0,1] op_sel_hi:[1,1,0]
	v_pk_fma_f32 v[10:11], v[12:13], v[46:47], v[10:11] op_sel:[0,0,1] op_sel_hi:[1,0,0] neg_lo:[1,0,0] neg_hi:[1,0,0]
	v_lshlrev_b32_e32 v4, 1, v30
	v_sub_u32_e32 v47, 0, v62
	v_lshl_add_u32 v62, v0, 3, 0
	v_and_or_b32 v0, v1, s2, v61
	s_movk_i32 s2, 0x7fc
	v_mov_b32_e32 v59, v5
	v_lshlrev_b32_e32 v5, 1, v26
	v_lshl_add_u32 v67, v0, 3, 0
	v_and_or_b32 v0, v4, s2, v61
	v_mov_b32_e32 v15, v9
	v_mov_b32_e32 v57, v7
	v_lshl_add_u32 v68, v0, 3, 0
	v_and_or_b32 v0, v5, s3, v61
	v_pk_add_f32 v[12:13], v[44:45], v[58:59] neg_lo:[0,1] neg_hi:[0,1]
	v_mov_b32_e32 v35, v11
	v_lshlrev_b32_e32 v46, 1, v24
	v_lshl_add_u32 v69, v0, 3, 0
	v_pk_add_f32 v[0:1], v[42:43], v[2:3] neg_lo:[0,1] neg_hi:[0,1]
	v_pk_add_f32 v[4:5], v[40:41], v[14:15] neg_lo:[0,1] neg_hi:[0,1]
	;; [unrolled: 1-line block ×3, first 2 shown]
	v_pk_fma_f32 v[14:15], v[44:45], 2.0, v[12:13] op_sel_hi:[1,0,1] neg_lo:[0,0,1] neg_hi:[0,0,1]
	v_pk_add_f32 v[34:35], v[36:37], v[34:35] neg_lo:[0,1] neg_hi:[0,1]
	v_pk_fma_f32 v[2:3], v[42:43], 2.0, v[0:1] op_sel_hi:[1,0,1] neg_lo:[0,0,1] neg_hi:[0,0,1]
	v_pk_fma_f32 v[6:7], v[40:41], 2.0, v[4:5] op_sel_hi:[1,0,1] neg_lo:[0,0,1] neg_hi:[0,0,1]
	;; [unrolled: 1-line block ×3, first 2 shown]
	ds_write2_b64 v62, v[14:15], v[12:13] offset1:2
	ds_write2_b64 v67, v[10:11], v[8:9] offset1:2
	;; [unrolled: 1-line block ×4, first 2 shown]
	v_and_or_b32 v0, v46, s2, v61
	v_pk_fma_f32 v[36:37], v[36:37], 2.0, v[34:35] op_sel_hi:[1,0,1] neg_lo:[0,0,1] neg_hi:[0,0,1]
	v_lshl_add_u32 v0, v0, 3, 0
	ds_write2_b64 v0, v[36:37], v[34:35] offset1:2
	v_add_u32_e32 v0, 0x1000, v25
	s_waitcnt lgkmcnt(0)
	s_barrier
	ds_read2_b64 v[8:11], v0 offset0:76 offset1:202
	ds_read2_b64 v[12:15], v60 offset0:24 offset1:150
	;; [unrolled: 1-line block ×4, first 2 shown]
	ds_read_b64 v[38:39], v25
	ds_read_b64 v[44:45], v63
	;; [unrolled: 1-line block ×4, first 2 shown]
	s_movk_i32 s2, 0x53
	v_cmp_lt_u32_e64 s[2:3], s2, v20
	v_add_u32_e32 v50, v48, v47
                                        ; implicit-def: $vgpr46
                                        ; implicit-def: $vgpr48
	s_and_saveexec_b64 s[10:11], vcc
	s_cbranch_execz .LBB0_15
; %bb.14:
	ds_read_b64 v[36:37], v50
	ds_read_b64 v[46:47], v25 offset:13440
	ds_read_b64 v[34:35], v25 offset:8736
	s_waitcnt lgkmcnt(1)
	v_mov_b32_e32 v48, v47
.LBB0_15:
	s_or_b64 exec, exec, s[10:11]
	v_and_b32_e32 v57, 3, v22
	v_and_b32_e32 v70, 3, v32
	v_lshlrev_b32_e32 v47, 4, v70
	v_lshlrev_b32_e32 v56, 4, v57
	global_load_dwordx4 v[58:61], v47, s[8:9] offset:16
	global_load_dwordx4 v[62:65], v56, s[8:9] offset:16
	v_and_b32_e32 v47, 3, v20
	v_lshlrev_b32_e32 v56, 4, v47
	global_load_dwordx4 v[66:69], v56, s[8:9] offset:16
	v_lshrrev_b32_e32 v71, 2, v22
	v_lshrrev_b32_e32 v72, 2, v32
	;; [unrolled: 1-line block ×3, first 2 shown]
	v_mul_lo_u32 v71, v71, 12
	v_mul_lo_u32 v72, v72, 12
	;; [unrolled: 1-line block ×3, first 2 shown]
	v_or_b32_e32 v57, v71, v57
	v_or_b32_e32 v70, v72, v70
	;; [unrolled: 1-line block ×3, first 2 shown]
	v_lshl_add_u32 v88, v71, 3, 0
	v_lshl_add_u32 v89, v70, 3, 0
	v_sub_u32_e32 v56, 0, v54
	v_sub_u32_e32 v54, 0, v55
	s_mov_b32 s10, 0x3f5db3d7
	v_lshrrev_b32_e32 v55, 2, v20
	v_mul_u32_u24_e32 v55, 12, v55
	v_or_b32_e32 v55, v55, v47
	v_lshl_add_u32 v55, v55, 3, 0
	s_waitcnt lgkmcnt(0)
	s_barrier
	v_lshl_add_u32 v57, v57, 3, 0
	v_sub_u32_e32 v52, 0, v52
	s_waitcnt vmcnt(2)
	v_pk_mul_f32 v[70:71], v[58:59], v[6:7] op_sel:[0,1]
	v_pk_mul_f32 v[72:73], v[60:61], v[2:3] op_sel:[0,1]
	s_waitcnt vmcnt(1)
	v_pk_mul_f32 v[74:75], v[62:63], v[10:11] op_sel:[0,1]
	v_pk_mul_f32 v[76:77], v[64:65], v[14:15] op_sel:[0,1]
	;; [unrolled: 3-line block ×3, first 2 shown]
	v_pk_mul_f32 v[82:83], v[34:35], v[66:67] op_sel:[1,0]
	v_pk_mul_f32 v[84:85], v[48:49], v[68:69] op_sel_hi:[0,1]
	v_pk_fma_f32 v[86:87], v[58:59], v[6:7], v[70:71] op_sel:[0,0,1] op_sel_hi:[1,1,0]
	v_pk_fma_f32 v[6:7], v[58:59], v[6:7], v[70:71] op_sel:[0,0,1] op_sel_hi:[1,0,0] neg_lo:[1,0,0] neg_hi:[1,0,0]
	v_pk_fma_f32 v[58:59], v[60:61], v[2:3], v[72:73] op_sel:[0,0,1] op_sel_hi:[1,1,0]
	v_pk_fma_f32 v[2:3], v[60:61], v[2:3], v[72:73] op_sel:[0,0,1] op_sel_hi:[1,0,0] neg_lo:[1,0,0] neg_hi:[1,0,0]
	;; [unrolled: 2-line block ×8, first 2 shown]
	v_mov_b32_e32 v73, v35
	v_mov_b32_e32 v75, v77
	;; [unrolled: 1-line block ×8, first 2 shown]
	v_pk_add_f32 v[2:3], v[36:37], v[72:73]
	v_pk_add_f32 v[6:7], v[72:73], v[74:75]
	v_pk_add_f32 v[8:9], v[72:73], v[74:75] neg_lo:[0,1] neg_hi:[0,1]
	v_pk_add_f32 v[10:11], v[40:41], v[86:87]
	v_pk_add_f32 v[12:13], v[44:45], v[60:61]
	;; [unrolled: 1-line block ×4, first 2 shown]
	v_pk_add_f32 v[64:65], v[64:65], v[70:71] neg_lo:[0,1] neg_hi:[0,1]
	v_pk_add_f32 v[34:35], v[2:3], v[74:75]
	v_pk_fma_f32 v[2:3], v[6:7], 0.5, v[36:37] op_sel_hi:[1,0,1] neg_lo:[1,0,0] neg_hi:[1,0,0]
	v_pk_mul_f32 v[6:7], v[8:9], s[10:11] op_sel_hi:[1,0]
	v_pk_add_f32 v[8:9], v[10:11], v[58:59]
	v_pk_add_f32 v[10:11], v[12:13], v[62:63]
	v_pk_add_f32 v[12:13], v[14:15], v[70:71]
	v_pk_fma_f32 v[14:15], v[72:73], 0.5, v[38:39] op_sel_hi:[1,0,1] neg_lo:[1,0,0] neg_hi:[1,0,0]
	v_pk_mul_f32 v[64:65], v[64:65], s[10:11] op_sel_hi:[1,0]
	v_pk_add_f32 v[36:37], v[6:7], v[2:3] op_sel:[1,0] op_sel_hi:[0,1]
	v_pk_add_f32 v[38:39], v[2:3], v[6:7] op_sel:[0,1] op_sel_hi:[1,0] neg_lo:[0,1] neg_hi:[0,1]
	v_pk_add_f32 v[2:3], v[14:15], v[64:65] op_sel:[0,1] op_sel_hi:[1,0] neg_lo:[0,1] neg_hi:[0,1]
	v_pk_add_f32 v[6:7], v[14:15], v[64:65] op_sel:[0,1] op_sel_hi:[1,0]
	v_mov_b32_e32 v14, v2
	v_mov_b32_e32 v15, v7
	;; [unrolled: 1-line block ×3, first 2 shown]
	v_pk_add_f32 v[76:77], v[60:61], v[62:63]
	ds_write2_b64 v55, v[12:13], v[14:15] offset1:4
	ds_write_b64 v55, v[6:7] offset:64
	v_pk_add_f32 v[6:7], v[60:61], v[62:63] neg_lo:[0,1] neg_hi:[0,1]
	v_pk_fma_f32 v[2:3], v[76:77], 0.5, v[44:45] op_sel_hi:[1,0,1] neg_lo:[1,0,0] neg_hi:[1,0,0]
	v_pk_mul_f32 v[6:7], v[6:7], s[10:11] op_sel_hi:[1,0]
	s_nop 0
	v_pk_add_f32 v[12:13], v[2:3], v[6:7] op_sel:[0,1] op_sel_hi:[1,0] neg_lo:[0,1] neg_hi:[0,1]
	v_pk_add_f32 v[2:3], v[2:3], v[6:7] op_sel:[0,1] op_sel_hi:[1,0]
	v_mov_b32_e32 v6, v12
	v_mov_b32_e32 v7, v3
	v_mov_b32_e32 v3, v13
	ds_write_b64 v57, v[2:3] offset:64
	v_pk_mul_f32 v[2:3], v[66:67], v[4:5] op_sel:[0,1]
	ds_write2_b64 v57, v[10:11], v[6:7] offset1:4
	v_pk_fma_f32 v[6:7], v[66:67], v[4:5], v[2:3] op_sel:[0,0,1] op_sel_hi:[1,1,0]
	v_pk_fma_f32 v[2:3], v[66:67], v[4:5], v[2:3] op_sel:[0,0,1] op_sel_hi:[1,0,0] neg_lo:[1,0,0] neg_hi:[1,0,0]
	s_nop 0
	v_mov_b32_e32 v7, v3
	v_pk_mul_f32 v[2:3], v[68:69], v[0:1] op_sel:[0,1]
	s_nop 0
	v_pk_fma_f32 v[4:5], v[68:69], v[0:1], v[2:3] op_sel:[0,0,1] op_sel_hi:[1,1,0]
	v_pk_fma_f32 v[0:1], v[68:69], v[0:1], v[2:3] op_sel:[0,0,1] op_sel_hi:[1,0,0] neg_lo:[1,0,0] neg_hi:[1,0,0]
	s_nop 0
	v_mov_b32_e32 v5, v1
	v_pk_add_f32 v[0:1], v[42:43], v[6:7]
	v_pk_add_f32 v[2:3], v[6:7], v[4:5]
	;; [unrolled: 1-line block ×3, first 2 shown]
	v_pk_add_f32 v[4:5], v[6:7], v[4:5] neg_lo:[0,1] neg_hi:[0,1]
	v_pk_fma_f32 v[2:3], v[2:3], 0.5, v[42:43] op_sel_hi:[1,0,1] neg_lo:[1,0,0] neg_hi:[1,0,0]
	v_pk_mul_f32 v[4:5], v[4:5], s[10:11] op_sel_hi:[1,0]
	s_nop 0
	v_pk_add_f32 v[6:7], v[2:3], v[4:5] op_sel:[0,1] op_sel_hi:[1,0] neg_lo:[0,1] neg_hi:[0,1]
	v_pk_add_f32 v[2:3], v[2:3], v[4:5] op_sel:[0,1] op_sel_hi:[1,0]
	v_mov_b32_e32 v4, v6
	v_mov_b32_e32 v5, v3
	;; [unrolled: 1-line block ×3, first 2 shown]
	ds_write2_b64 v88, v[0:1], v[4:5] offset1:4
	ds_write_b64 v88, v[2:3] offset:64
	v_pk_add_f32 v[0:1], v[86:87], v[58:59]
	v_pk_add_f32 v[2:3], v[86:87], v[58:59] neg_lo:[0,1] neg_hi:[0,1]
	v_pk_fma_f32 v[0:1], v[0:1], 0.5, v[40:41] op_sel_hi:[1,0,1] neg_lo:[1,0,0] neg_hi:[1,0,0]
	v_pk_mul_f32 v[2:3], v[2:3], s[10:11] op_sel_hi:[1,0]
	s_nop 0
	v_pk_add_f32 v[4:5], v[0:1], v[2:3] op_sel:[0,1] op_sel_hi:[1,0] neg_lo:[0,1] neg_hi:[0,1]
	v_pk_add_f32 v[0:1], v[0:1], v[2:3] op_sel:[0,1] op_sel_hi:[1,0]
	v_mov_b32_e32 v2, v4
	v_mov_b32_e32 v3, v1
	;; [unrolled: 1-line block ×3, first 2 shown]
	ds_write2_b64 v89, v[8:9], v[2:3] offset1:4
	ds_write_b64 v89, v[0:1] offset:64
	s_and_saveexec_b64 s[10:11], vcc
	s_cbranch_execz .LBB0_17
; %bb.16:
	v_lshrrev_b32_e32 v0, 2, v30
	v_mul_lo_u32 v0, v0, 12
	v_or_b32_e32 v0, v0, v47
	v_lshl_add_u32 v2, v0, 3, 0
	v_mov_b32_e32 v0, v38
	v_mov_b32_e32 v1, v37
	ds_write2_b64 v2, v[34:35], v[0:1] offset1:4
	v_mov_b32_e32 v0, v36
	v_mov_b32_e32 v1, v39
	ds_write_b64 v2, v[0:1] offset:64
.LBB0_17:
	s_or_b64 exec, exec, s[10:11]
	v_add_u32_e32 v8, 0x1800, v25
	s_waitcnt lgkmcnt(0)
	s_barrier
	v_add_u32_e32 v0, 0x1000, v25
	v_add_u32_e32 v4, 0x2400, v25
	ds_read2_b64 v[12:15], v8 offset0:72 offset1:198
	v_add_u32_e32 v8, 0x2c00, v25
	ds_read2_b64 v[0:3], v0 offset0:76 offset1:202
	ds_read2_b64 v[4:7], v4 offset0:24 offset1:150
	v_add_u32_e32 v52, v51, v52
	v_add_u32_e32 v51, v53, v56
	ds_read2_b64 v[8:11], v8 offset0:20 offset1:146
	v_add_u32_e32 v48, v33, v54
	ds_read_b64 v[46:47], v25
	ds_read_b64 v[44:45], v52
	;; [unrolled: 1-line block ×4, first 2 shown]
	s_and_saveexec_b64 s[10:11], s[2:3]
	s_xor_b64 s[2:3], exec, s[10:11]
	s_andn2_saveexec_b64 s[2:3], s[2:3]
	s_cbranch_execz .LBB0_19
; %bb.18:
	ds_read_b64 v[54:55], v25 offset:13440
	ds_read_b64 v[38:39], v25 offset:8736
	ds_read_b64 v[34:35], v50
	s_waitcnt lgkmcnt(2)
	v_mov_b32_e32 v36, v54
	s_waitcnt lgkmcnt(1)
	v_mov_b32_e32 v37, v39
	v_mov_b32_e32 v39, v55
.LBB0_19:
	s_or_b64 exec, exec, s[2:3]
	s_movk_i32 s2, 0xab
	v_mul_lo_u16_sdwa v53, v22, s2 dst_sel:DWORD dst_unused:UNUSED_PAD src0_sel:BYTE_0 src1_sel:DWORD
	v_lshrrev_b16_e32 v53, 11, v53
	v_mul_lo_u16_e32 v54, 12, v53
	s_mov_b32 s3, 0xaaab
	v_sub_u16_e32 v70, v22, v54
	v_mul_u32_u24_sdwa v54, v28, s3 dst_sel:DWORD dst_unused:UNUSED_PAD src0_sel:WORD_0 src1_sel:DWORD
	v_lshrrev_b32_e32 v71, 19, v54
	v_mul_lo_u16_e32 v54, 12, v71
	v_sub_u16_e32 v72, v28, v54
	v_mul_u32_u24_sdwa v54, v29, s3 dst_sel:DWORD dst_unused:UNUSED_PAD src0_sel:WORD_0 src1_sel:DWORD
	v_lshrrev_b32_e32 v73, 19, v54
	v_mul_lo_u16_e32 v54, 12, v73
	v_sub_u16_e32 v74, v29, v54
	v_lshlrev_b32_e32 v29, 4, v74
	v_lshlrev_b32_e32 v62, 4, v72
	global_load_dwordx4 v[54:57], v29, s[8:9] offset:80
	global_load_dwordx4 v[58:61], v62, s[8:9] offset:80
	v_mul_lo_u16_sdwa v62, v20, s2 dst_sel:DWORD dst_unused:UNUSED_PAD src0_sel:BYTE_0 src1_sel:DWORD
	v_lshrrev_b16_e32 v75, 11, v62
	v_mov_b32_e32 v33, 4
	v_mul_lo_u16_e32 v62, 12, v75
	v_lshlrev_b32_sdwa v29, v33, v70 dst_sel:DWORD dst_unused:UNUSED_PAD src0_sel:DWORD src1_sel:BYTE_0
	v_sub_u16_e32 v76, v20, v62
	global_load_dwordx4 v[62:65], v29, s[8:9] offset:80
	v_lshlrev_b32_sdwa v29, v33, v76 dst_sel:DWORD dst_unused:UNUSED_PAD src0_sel:DWORD src1_sel:BYTE_0
	global_load_dwordx4 v[66:69], v29, s[8:9] offset:80
	s_mov_b32 s10, 0x5040100
	s_movk_i32 s2, 0x120
	v_perm_b32 v71, v73, v71, s10
	v_mov_b32_e32 v29, 3
	v_pk_mul_lo_u16 v71, v71, s2 op_sel_hi:[1,0]
	v_mul_u32_u24_e32 v33, 0x120, v75
	v_mul_u32_u24_e32 v53, 0x120, v53
	v_lshlrev_b32_sdwa v73, v29, v76 dst_sel:DWORD dst_unused:UNUSED_PAD src0_sel:DWORD src1_sel:BYTE_0
	v_lshlrev_b32_sdwa v70, v29, v70 dst_sel:DWORD dst_unused:UNUSED_PAD src0_sel:DWORD src1_sel:BYTE_0
	v_and_b32_e32 v75, 0xffe0, v71
	v_lshlrev_b32_e32 v72, 3, v72
	v_lshrrev_b32_e32 v71, 16, v71
	v_lshlrev_b32_e32 v74, 3, v74
	v_add3_u32 v33, 0, v33, v73
	v_add3_u32 v53, 0, v53, v70
	;; [unrolled: 1-line block ×4, first 2 shown]
	s_mov_b32 s2, 0x3f5db3d7
	s_waitcnt lgkmcnt(0)
	s_barrier
	v_sub_u32_e32 v31, 0, v31
	s_waitcnt vmcnt(3)
	v_pk_mul_f32 v[70:71], v[54:55], v[14:15] op_sel:[0,1]
	v_mov_b32_e32 v72, v57
	s_waitcnt vmcnt(2)
	v_pk_mul_f32 v[74:75], v[58:59], v[12:13] op_sel:[0,1]
	v_pk_mul_f32 v[76:77], v[60:61], v[8:9] op_sel:[0,1]
	v_pk_fma_f32 v[86:87], v[54:55], v[14:15], v[70:71] op_sel:[0,0,1] op_sel_hi:[1,1,0]
	v_pk_fma_f32 v[14:15], v[54:55], v[14:15], v[70:71] op_sel:[0,0,1] op_sel_hi:[1,0,0] neg_lo:[1,0,0] neg_hi:[1,0,0]
	v_pk_fma_f32 v[54:55], v[58:59], v[12:13], v[74:75] op_sel:[0,0,1] op_sel_hi:[1,1,0]
	v_pk_fma_f32 v[12:13], v[58:59], v[12:13], v[74:75] op_sel:[0,0,1] op_sel_hi:[1,0,0] neg_lo:[1,0,0] neg_hi:[1,0,0]
	s_waitcnt vmcnt(1)
	v_pk_mul_f32 v[78:79], v[62:63], v[2:3] op_sel:[0,1]
	v_pk_mul_f32 v[80:81], v[64:65], v[6:7] op_sel:[0,1]
	s_waitcnt vmcnt(0)
	v_pk_mul_f32 v[82:83], v[66:67], v[0:1] op_sel:[0,1]
	v_pk_mul_f32 v[84:85], v[68:69], v[4:5] op_sel:[0,1]
	v_pk_fma_f32 v[58:59], v[60:61], v[8:9], v[76:77] op_sel:[0,0,1] op_sel_hi:[1,1,0]
	v_pk_fma_f32 v[8:9], v[60:61], v[8:9], v[76:77] op_sel:[0,0,1] op_sel_hi:[1,0,0] neg_lo:[1,0,0] neg_hi:[1,0,0]
	v_pk_fma_f32 v[60:61], v[62:63], v[2:3], v[78:79] op_sel:[0,0,1] op_sel_hi:[1,1,0]
	v_pk_fma_f32 v[2:3], v[62:63], v[2:3], v[78:79] op_sel:[0,0,1] op_sel_hi:[1,0,0] neg_lo:[1,0,0] neg_hi:[1,0,0]
	;; [unrolled: 2-line block ×3, first 2 shown]
	v_pk_mul_f32 v[64:65], v[10:11], v[72:73] op_sel_hi:[1,0]
	v_pk_fma_f32 v[70:71], v[66:67], v[0:1], v[82:83] op_sel:[0,0,1] op_sel_hi:[1,1,0]
	v_pk_fma_f32 v[0:1], v[66:67], v[0:1], v[82:83] op_sel:[0,0,1] op_sel_hi:[1,0,0] neg_lo:[1,0,0] neg_hi:[1,0,0]
	v_pk_fma_f32 v[66:67], v[68:69], v[4:5], v[84:85] op_sel:[0,0,1] op_sel_hi:[1,1,0]
	v_pk_fma_f32 v[4:5], v[68:69], v[4:5], v[84:85] op_sel:[0,0,1] op_sel_hi:[1,0,0] neg_lo:[1,0,0] neg_hi:[1,0,0]
	v_mov_b32_e32 v87, v15
	v_pk_fma_f32 v[14:15], v[10:11], v[56:57], v[64:65] op_sel:[0,0,1] op_sel_hi:[1,1,0]
	v_pk_fma_f32 v[10:11], v[10:11], v[56:57], v[64:65] op_sel:[0,0,1] op_sel_hi:[1,0,0] neg_lo:[0,0,1] neg_hi:[0,0,1]
	v_mov_b32_e32 v71, v1
	v_mov_b32_e32 v67, v5
	v_mov_b32_e32 v59, v9
	v_mov_b32_e32 v15, v11
	v_pk_add_f32 v[8:9], v[70:71], v[66:67]
	v_pk_add_f32 v[10:11], v[70:71], v[66:67] neg_lo:[0,1] neg_hi:[0,1]
	v_pk_fma_f32 v[8:9], v[8:9], 0.5, v[46:47] op_sel_hi:[1,0,1] neg_lo:[1,0,0] neg_hi:[1,0,0]
	v_pk_mul_f32 v[10:11], v[10:11], s[2:3] op_sel_hi:[1,0]
	v_mov_b32_e32 v55, v13
	v_mov_b32_e32 v63, v7
	v_pk_add_f32 v[6:7], v[46:47], v[70:71]
	v_pk_add_f32 v[12:13], v[8:9], v[10:11] op_sel:[0,1] op_sel_hi:[1,0] neg_lo:[0,1] neg_hi:[0,1]
	v_pk_add_f32 v[8:9], v[8:9], v[10:11] op_sel:[0,1] op_sel_hi:[1,0]
	v_mov_b32_e32 v61, v3
	v_pk_add_f32 v[6:7], v[6:7], v[66:67]
	v_mov_b32_e32 v10, v12
	v_mov_b32_e32 v11, v9
	v_mov_b32_e32 v9, v13
	ds_write2_b64 v33, v[6:7], v[10:11] offset1:12
	ds_write_b64 v33, v[8:9] offset:192
	v_pk_add_f32 v[6:7], v[60:61], v[62:63]
	v_pk_add_f32 v[8:9], v[60:61], v[62:63] neg_lo:[0,1] neg_hi:[0,1]
	v_pk_fma_f32 v[6:7], v[6:7], 0.5, v[44:45] op_sel_hi:[1,0,1] neg_lo:[1,0,0] neg_hi:[1,0,0]
	v_pk_mul_f32 v[8:9], v[8:9], s[2:3] op_sel_hi:[1,0]
	v_pk_add_f32 v[4:5], v[44:45], v[60:61]
	v_pk_add_f32 v[10:11], v[6:7], v[8:9] op_sel:[0,1] op_sel_hi:[1,0] neg_lo:[0,1] neg_hi:[0,1]
	v_pk_add_f32 v[6:7], v[6:7], v[8:9] op_sel:[0,1] op_sel_hi:[1,0]
	v_pk_add_f32 v[4:5], v[4:5], v[62:63]
	v_mov_b32_e32 v8, v10
	v_mov_b32_e32 v9, v7
	v_mov_b32_e32 v7, v11
	ds_write2_b64 v53, v[4:5], v[8:9] offset1:12
	ds_write_b64 v53, v[6:7] offset:192
	v_pk_add_f32 v[4:5], v[54:55], v[58:59]
	v_pk_add_f32 v[6:7], v[54:55], v[58:59] neg_lo:[0,1] neg_hi:[0,1]
	v_pk_fma_f32 v[4:5], v[4:5], 0.5, v[42:43] op_sel_hi:[1,0,1] neg_lo:[1,0,0] neg_hi:[1,0,0]
	v_pk_mul_f32 v[6:7], v[6:7], s[2:3] op_sel_hi:[1,0]
	v_pk_add_f32 v[2:3], v[42:43], v[54:55]
	v_pk_add_f32 v[8:9], v[4:5], v[6:7] op_sel:[0,1] op_sel_hi:[1,0] neg_lo:[0,1] neg_hi:[0,1]
	v_pk_add_f32 v[4:5], v[4:5], v[6:7] op_sel:[0,1] op_sel_hi:[1,0]
	;; [unrolled: 13-line block ×3, first 2 shown]
	v_pk_add_f32 v[0:1], v[0:1], v[14:15]
	v_mov_b32_e32 v4, v6
	v_mov_b32_e32 v5, v3
	;; [unrolled: 1-line block ×3, first 2 shown]
	ds_write2_b64 v88, v[0:1], v[4:5] offset1:12
	ds_write_b64 v88, v[2:3] offset:192
	s_and_saveexec_b64 s[10:11], vcc
	s_cbranch_execz .LBB0_21
; %bb.20:
	v_mul_u32_u24_sdwa v0, v30, s3 dst_sel:DWORD dst_unused:UNUSED_PAD src0_sel:WORD_0 src1_sel:DWORD
	v_lshrrev_b32_e32 v4, 19, v0
	v_mul_lo_u16_e32 v0, 12, v4
	v_sub_u16_e32 v5, v30, v0
	v_lshlrev_b32_e32 v0, 4, v5
	global_load_dwordx4 v[0:3], v0, s[8:9] offset:80
	v_mul_lo_u16_e32 v4, 36, v4
	v_lshlrev_b32_e32 v4, 3, v4
	v_lshlrev_b32_e32 v5, 3, v5
	v_add3_u32 v10, 0, v5, v4
	s_waitcnt vmcnt(0)
	v_pk_mul_f32 v[4:5], v[38:39], v[2:3] op_sel:[1,0]
	v_pk_mul_f32 v[6:7], v[36:37], v[0:1] op_sel:[1,0]
	s_nop 0
	v_pk_fma_f32 v[8:9], v[38:39], v[0:1], v[6:7] op_sel:[0,0,1] op_sel_hi:[1,1,0]
	v_pk_fma_f32 v[0:1], v[38:39], v[0:1], v[6:7] op_sel:[0,0,1] op_sel_hi:[0,1,0] neg_lo:[1,0,0] neg_hi:[1,0,0]
	v_pk_fma_f32 v[6:7], v[36:37], v[2:3], v[4:5] op_sel:[0,0,1] op_sel_hi:[1,1,0]
	v_pk_fma_f32 v[2:3], v[36:37], v[2:3], v[4:5] op_sel:[0,0,1] op_sel_hi:[0,1,0] neg_lo:[1,0,0] neg_hi:[1,0,0]
	v_mov_b32_e32 v9, v1
	v_mov_b32_e32 v7, v3
	v_pk_add_f32 v[2:3], v[8:9], v[6:7]
	v_pk_add_f32 v[4:5], v[8:9], v[6:7] neg_lo:[0,1] neg_hi:[0,1]
	v_pk_add_f32 v[0:1], v[34:35], v[8:9]
	v_pk_fma_f32 v[2:3], -0.5, v[2:3], v[34:35] op_sel_hi:[0,1,1]
	v_pk_mul_f32 v[4:5], v[4:5], s[2:3] op_sel_hi:[1,0]
	v_pk_add_f32 v[0:1], v[0:1], v[6:7]
	v_pk_add_f32 v[6:7], v[2:3], v[4:5] op_sel:[0,1] op_sel_hi:[1,0] neg_lo:[0,1] neg_hi:[0,1]
	v_pk_add_f32 v[2:3], v[2:3], v[4:5] op_sel:[0,1] op_sel_hi:[1,0]
	v_mov_b32_e32 v4, v6
	v_mov_b32_e32 v5, v3
	;; [unrolled: 1-line block ×3, first 2 shown]
	ds_write2_b64 v10, v[0:1], v[4:5] offset1:12
	ds_write_b64 v10, v[2:3] offset:192
.LBB0_21:
	s_or_b64 exec, exec, s[10:11]
	v_mov_b32_e32 v0, 57
	v_mul_lo_u16_sdwa v1, v20, v0 dst_sel:DWORD dst_unused:UNUSED_PAD src0_sel:BYTE_0 src1_sel:DWORD
	v_mul_lo_u16_sdwa v0, v22, v0 dst_sel:DWORD dst_unused:UNUSED_PAD src0_sel:BYTE_0 src1_sel:DWORD
	v_lshrrev_b16_e32 v9, 11, v1
	v_lshrrev_b16_e32 v70, 11, v0
	v_mul_lo_u16_e32 v1, 36, v9
	v_mul_lo_u16_e32 v0, 36, v70
	v_sub_u16_e32 v33, v20, v1
	v_mov_b32_e32 v1, 6
	v_sub_u16_e32 v71, v22, v0
	v_mul_u32_u24_sdwa v2, v33, v1 dst_sel:DWORD dst_unused:UNUSED_PAD src0_sel:BYTE_0 src1_sel:DWORD
	v_mul_u32_u24_sdwa v0, v71, v1 dst_sel:DWORD dst_unused:UNUSED_PAD src0_sel:BYTE_0 src1_sel:DWORD
	v_lshlrev_b32_e32 v53, 3, v2
	v_lshlrev_b32_e32 v0, 3, v0
	s_waitcnt lgkmcnt(0)
	s_barrier
	global_load_dwordx4 v[2:5], v53, s[8:9] offset:288
	global_load_dwordx4 v[10:13], v0, s[8:9] offset:288
	;; [unrolled: 1-line block ×4, first 2 shown]
	ds_read_b64 v[6:7], v25
	ds_read_b64 v[14:15], v50
	v_add_u32_e32 v8, v27, v31
	v_add_u32_e32 v27, 0x1800, v25
	;; [unrolled: 1-line block ×5, first 2 shown]
	ds_read_b64 v[46:47], v51
	ds_read_b64 v[0:1], v52
	ds_read_b64 v[74:75], v25 offset:13104
	ds_read_b64 v[76:77], v8
	ds_read2_b64 v[42:45], v27 offset0:114 offset1:240
	ds_read2_b64 v[54:57], v31 offset0:110 offset1:236
	;; [unrolled: 1-line block ×4, first 2 shown]
	global_load_dwordx4 v[66:69], v53, s[8:9] offset:272
	v_mul_u32_u24_e32 v70, 0x7e0, v70
	v_lshlrev_b32_sdwa v33, v29, v33 dst_sel:DWORD dst_unused:UNUSED_PAD src0_sel:DWORD src1_sel:BYTE_0
	v_lshlrev_b32_sdwa v29, v29, v71 dst_sel:DWORD dst_unused:UNUSED_PAD src0_sel:DWORD src1_sel:BYTE_0
	v_add3_u32 v29, 0, v70, v29
	global_load_dwordx4 v[70:73], v53, s[8:9] offset:304
	s_waitcnt lgkmcnt(0)
	v_mov_b32_e32 v80, v63
	v_mov_b32_e32 v82, v65
	;; [unrolled: 1-line block ×4, first 2 shown]
	s_mov_b32 s20, 0x3f08b237
	s_mov_b32 s18, 0x3d64c772
	;; [unrolled: 1-line block ×10, first 2 shown]
	v_mul_u32_u24_e32 v9, 0x7e0, v9
	v_add3_u32 v9, 0, v9, v33
	s_barrier
	s_mov_b32 s12, 0xbf5ff5aa
	s_mov_b32 s14, 0x3f3bfb3b
	v_cmp_ne_u32_e32 vcc, 0, v20
	s_waitcnt vmcnt(4)
	v_pk_mul_f32 v[92:93], v[42:43], v[10:11]
	s_waitcnt vmcnt(3)
	v_pk_mul_f32 v[94:95], v[62:63], v[34:35] op_sel_hi:[0,1]
	v_pk_mul_f32 v[96:97], v[64:65], v[36:37] op_sel_hi:[0,1]
	v_pk_fma_f32 v[80:81], v[80:81], v[34:35], v[94:95] op_sel:[0,0,1] op_sel_hi:[1,1,0] neg_lo:[0,0,1] neg_hi:[0,0,1]
	v_pk_fma_f32 v[34:35], v[62:63], v[34:35], v[94:95] op_sel:[1,0,1] op_sel_hi:[1,1,0]
	v_pk_fma_f32 v[62:63], v[64:65], v[36:37], v[96:97] op_sel:[1,0,1] op_sel_hi:[1,1,0]
	v_pk_fma_f32 v[36:37], v[82:83], v[36:37], v[96:97] op_sel:[0,0,1] op_sel_hi:[1,1,0] neg_lo:[0,0,1] neg_hi:[0,0,1]
	s_waitcnt vmcnt(2)
	v_pk_mul_f32 v[96:97], v[74:75], v[40:41] op_sel_hi:[0,1]
	v_mov_b32_e32 v34, v11
	v_pk_mul_f32 v[64:65], v[42:43], v[10:11] op_sel:[1,0] op_sel_hi:[0,1]
	v_pk_fma_f32 v[78:79], v[78:79], v[40:41], v[96:97] op_sel:[0,0,1] op_sel_hi:[1,1,0] neg_lo:[0,0,1] neg_hi:[0,0,1]
	v_pk_fma_f32 v[40:41], v[74:75], v[40:41], v[96:97] op_sel:[1,0,1] op_sel_hi:[1,1,0]
	v_pk_mul_f32 v[96:97], v[42:43], v[34:35] op_sel:[1,0] op_sel_hi:[0,1]
	v_mov_b32_e32 v34, v65
	v_mov_b32_e32 v81, v35
	;; [unrolled: 1-line block ×3, first 2 shown]
	v_mul_f32_e32 v86, v2, v76
	v_mul_f32_e32 v88, v3, v77
	;; [unrolled: 1-line block ×6, first 2 shown]
	v_mov_b32_e32 v44, v13
	v_pk_mul_f32 v[74:75], v[58:59], v[38:39] op_sel_hi:[0,1]
	v_pk_fma_f32 v[10:11], v[42:43], v[10:11], v[34:35] op_sel:[1,0,0] op_sel_hi:[0,1,1] neg_lo:[0,0,1] neg_hi:[0,0,1]
	v_pk_add_f32 v[34:35], v[80:81], v[78:79]
	v_fma_f32 v4, v4, v45, -v5
	v_pk_mul_f32 v[44:45], v[54:55], v[44:45] op_sel:[1,0] op_sel_hi:[0,1]
	v_pk_fma_f32 v[64:65], v[84:85], v[38:39], v[74:75] op_sel:[0,0,1] op_sel_hi:[1,1,0] neg_lo:[0,0,1] neg_hi:[0,0,1]
	v_pk_fma_f32 v[38:39], v[58:59], v[38:39], v[74:75] op_sel:[1,0,1] op_sel_hi:[1,1,0]
	v_mov_b32_e32 v34, v47
	s_waitcnt vmcnt(1)
	v_pk_mul_f32 v[74:75], v[66:67], v[46:47] op_sel_hi:[1,0]
	v_mov_b32_e32 v65, v39
	v_mov_b32_e32 v45, v78
	v_pk_add_f32 v[38:39], v[80:81], v[78:79] neg_lo:[0,1] neg_hi:[0,1]
	v_pk_fma_f32 v[78:79], v[66:67], v[34:35], v[74:75] op_sel:[0,0,1] op_sel_hi:[1,1,0] neg_lo:[0,0,1] neg_hi:[0,0,1]
	v_pk_fma_f32 v[46:47], v[66:67], v[46:47], v[74:75] op_sel:[0,1,1] op_sel_hi:[1,1,0]
	v_mov_b32_e32 v34, v15
	v_mov_b32_e32 v79, v47
	v_pk_mul_f32 v[46:47], v[68:69], v[14:15] op_sel_hi:[1,0]
	v_fma_f32 v2, v2, v77, -v3
	v_pk_fma_f32 v[14:15], v[68:69], v[14:15], v[46:47] op_sel:[0,1,1] op_sel_hi:[1,1,0]
	v_pk_fma_f32 v[66:67], v[68:69], v[34:35], v[46:47] op_sel:[0,0,1] op_sel_hi:[1,1,0] neg_lo:[0,0,1] neg_hi:[0,0,1]
	v_mov_b32_e32 v14, v57
	s_waitcnt vmcnt(0)
	v_pk_mul_f32 v[46:47], v[70:71], v[56:57] op_sel_hi:[1,0]
	v_mov_b32_e32 v67, v15
	v_pk_fma_f32 v[14:15], v[70:71], v[14:15], v[46:47] op_sel:[0,0,1] op_sel_hi:[1,1,0] neg_lo:[0,0,1] neg_hi:[0,0,1]
	v_pk_fma_f32 v[46:47], v[70:71], v[56:57], v[46:47] op_sel:[0,1,1] op_sel_hi:[1,1,0]
	v_mov_b32_e32 v34, v61
	v_mov_b32_e32 v15, v47
	v_pk_mul_f32 v[46:47], v[60:61], v[72:73] op_sel_hi:[0,1]
	v_pk_fma_f32 v[56:57], v[34:35], v[72:73], v[46:47] op_sel:[0,0,1] op_sel_hi:[1,1,0] neg_lo:[0,0,1] neg_hi:[0,0,1]
	v_pk_fma_f32 v[46:47], v[60:61], v[72:73], v[46:47] op_sel:[1,0,1] op_sel_hi:[1,1,0]
	v_mov_b32_e32 v77, v78
	v_mov_b32_e32 v57, v47
	;; [unrolled: 1-line block ×5, first 2 shown]
	v_pk_add_f32 v[46:47], v[78:79], v[56:57]
	v_pk_add_f32 v[60:61], v[78:79], v[56:57] neg_lo:[0,1] neg_hi:[0,1]
	v_pk_add_f32 v[68:69], v[66:67], v[14:15]
	v_pk_add_f32 v[70:71], v[66:67], v[14:15] neg_lo:[0,1] neg_hi:[0,1]
	v_pk_add_f32 v[56:57], v[76:77], v[90:91]
	v_pk_add_f32 v[14:15], v[86:87], v[88:89]
	v_mov_b32_e32 v5, v56
	v_mov_b32_e32 v3, v14
	v_pk_add_f32 v[66:67], v[4:5], v[2:3] neg_lo:[0,1] neg_hi:[0,1]
	v_mov_b32_e32 v78, v69
	v_mov_b32_e32 v79, v2
	;; [unrolled: 1-line block ×4, first 2 shown]
	v_pk_add_f32 v[2:3], v[78:79], v[2:3]
	v_pk_add_f32 v[4:5], v[14:15], v[56:57]
	v_pk_mul_f32 v[82:83], v[54:55], v[12:13]
	v_mov_b32_e32 v72, v66
	v_mov_b32_e32 v73, v61
	;; [unrolled: 1-line block ×7, first 2 shown]
	v_pk_add_f32 v[72:73], v[72:73], v[74:75] neg_lo:[0,1] neg_hi:[0,1]
	v_mov_b32_e32 v74, v60
	v_mov_b32_e32 v76, v66
	;; [unrolled: 1-line block ×3, first 2 shown]
	v_pk_add_f32 v[78:79], v[56:57], v[78:79] neg_lo:[0,1] neg_hi:[0,1]
	v_mov_b32_e32 v80, v47
	v_mov_b32_e32 v81, v3
	;; [unrolled: 1-line block ×3, first 2 shown]
	v_pk_add_f32 v[2:3], v[2:3], v[4:5]
	v_pk_mul_f32 v[72:73], v[72:73], s[20:21]
	v_pk_add_f32 v[74:75], v[74:75], v[76:77] neg_lo:[0,1] neg_hi:[0,1]
	v_pk_add_f32 v[66:67], v[66:67], v[70:71]
	v_pk_add_f32 v[80:81], v[80:81], v[14:15] neg_lo:[0,1] neg_hi:[0,1]
	v_pk_add_f32 v[4:5], v[2:3], v[6:7]
	v_pk_mul_f32 v[6:7], v[78:79], s[18:19]
	v_pk_mul_f32 v[76:77], v[74:75], s[10:11]
	v_pk_add_f32 v[66:67], v[66:67], v[60:61]
	v_pk_mul_f32 v[78:79], v[80:81], s[22:23]
	v_pk_fma_f32 v[2:3], v[2:3], s[16:17], v[4:5] op_sel_hi:[1,0,1] neg_lo:[1,0,0] neg_hi:[1,0,0]
	v_pk_fma_f32 v[80:81], v[80:81], s[22:23], v[6:7]
	v_pk_fma_f32 v[74:75], v[74:75], s[10:11], v[72:73]
	v_pk_add_f32 v[80:81], v[80:81], v[2:3]
	v_pk_fma_f32 v[74:75], v[66:67], s[2:3], v[74:75] op_sel_hi:[1,0,1]
	v_pk_add_f32 v[44:45], v[82:83], v[44:45]
	v_pk_add_f32 v[82:83], v[80:81], v[74:75]
	v_pk_add_f32 v[74:75], v[80:81], v[74:75] neg_lo:[0,1] neg_hi:[0,1]
	v_mov_b32_e32 v80, v82
	v_mov_b32_e32 v81, v75
	;; [unrolled: 1-line block ×4, first 2 shown]
	ds_write2_b64 v9, v[4:5], v[80:81] offset1:36
	v_pk_add_f32 v[4:5], v[70:71], v[60:61] neg_lo:[0,1] neg_hi:[0,1]
	v_pk_add_f32 v[14:15], v[14:15], v[56:57] neg_lo:[0,1] neg_hi:[0,1]
	v_mov_b32_e32 v46, v78
	v_mov_b32_e32 v47, v7
	v_mov_b32_e32 v56, v76
	v_mov_b32_e32 v57, v73
	v_mov_b32_e32 v7, v79
	v_mov_b32_e32 v73, v77
	v_pk_fma_f32 v[46:47], v[14:15], s[14:15], v[46:47] op_sel_hi:[1,0,1] neg_lo:[1,0,1] neg_hi:[1,0,1]
	v_pk_fma_f32 v[56:57], v[4:5], s[12:13], v[56:57] op_sel_hi:[1,0,1] neg_lo:[1,0,1] neg_hi:[1,0,1]
	;; [unrolled: 1-line block ×4, first 2 shown]
	v_pk_mul_f32 v[94:95], v[54:55], v[12:13] op_sel:[1,0] op_sel_hi:[0,1]
	v_pk_add_f32 v[46:47], v[46:47], v[2:3]
	v_pk_fma_f32 v[56:57], v[66:67], s[2:3], v[56:57] op_sel_hi:[1,0,1]
	v_pk_add_f32 v[2:3], v[6:7], v[2:3]
	v_pk_fma_f32 v[4:5], v[66:67], s[2:3], v[4:5] op_sel_hi:[1,0,1]
	v_mov_b32_e32 v40, v95
	v_mov_b32_e32 v37, v63
	;; [unrolled: 1-line block ×4, first 2 shown]
	v_pk_add_f32 v[60:61], v[46:47], v[56:57]
	v_pk_add_f32 v[46:47], v[46:47], v[56:57] neg_lo:[0,1] neg_hi:[0,1]
	v_pk_add_f32 v[6:7], v[2:3], v[4:5] neg_lo:[0,1] neg_hi:[0,1]
	v_pk_add_f32 v[2:3], v[2:3], v[4:5]
	v_pk_fma_f32 v[12:13], v[54:55], v[12:13], v[40:41] op_sel:[1,0,0] op_sel_hi:[0,1,1] neg_lo:[0,0,1] neg_hi:[0,0,1]
	v_pk_add_f32 v[40:41], v[36:37], v[64:65]
	v_pk_add_f32 v[42:43], v[36:37], v[64:65] neg_lo:[0,1] neg_hi:[0,1]
	v_pk_add_f32 v[36:37], v[92:93], v[96:97]
	v_mov_b32_e32 v56, v60
	v_mov_b32_e32 v57, v47
	;; [unrolled: 1-line block ×8, first 2 shown]
	ds_write2_b64 v9, v[56:57], v[4:5] offset0:72 offset1:108
	ds_write2_b64 v9, v[2:3], v[46:47] offset0:144 offset1:180
	v_mov_b32_e32 v2, v41
	v_mov_b32_e32 v3, v10
	;; [unrolled: 1-line block ×4, first 2 shown]
	v_pk_add_f32 v[54:55], v[12:13], v[10:11] neg_lo:[0,1] neg_hi:[0,1]
	v_pk_add_f32 v[2:3], v[2:3], v[4:5]
	v_pk_add_f32 v[4:5], v[36:37], v[44:45]
	v_mov_b32_e32 v58, v54
	v_mov_b32_e32 v59, v39
	;; [unrolled: 1-line block ×7, first 2 shown]
	v_pk_add_f32 v[58:59], v[58:59], v[62:63] neg_lo:[0,1] neg_hi:[0,1]
	v_mov_b32_e32 v62, v38
	v_mov_b32_e32 v64, v54
	;; [unrolled: 1-line block ×3, first 2 shown]
	v_pk_add_f32 v[6:7], v[44:45], v[6:7] neg_lo:[0,1] neg_hi:[0,1]
	v_mov_b32_e32 v10, v35
	v_mov_b32_e32 v11, v3
	;; [unrolled: 1-line block ×3, first 2 shown]
	v_pk_add_f32 v[2:3], v[2:3], v[4:5]
	v_pk_mul_f32 v[58:59], v[58:59], s[20:21]
	v_pk_add_f32 v[62:63], v[62:63], v[64:65] neg_lo:[0,1] neg_hi:[0,1]
	v_pk_add_f32 v[54:55], v[54:55], v[42:43]
	v_pk_add_f32 v[10:11], v[10:11], v[36:37] neg_lo:[0,1] neg_hi:[0,1]
	v_pk_add_f32 v[0:1], v[2:3], v[0:1]
	v_pk_mul_f32 v[4:5], v[6:7], s[18:19]
	v_pk_add_f32 v[54:55], v[54:55], v[38:39]
	v_pk_mul_f32 v[6:7], v[10:11], s[22:23]
	v_pk_fma_f32 v[2:3], v[2:3], s[16:17], v[0:1] op_sel_hi:[1,0,1] neg_lo:[1,0,0] neg_hi:[1,0,0]
	v_pk_fma_f32 v[10:11], v[10:11], s[22:23], v[4:5]
	v_pk_fma_f32 v[12:13], v[62:63], s[10:11], v[58:59]
	v_pk_add_f32 v[10:11], v[10:11], v[2:3]
	v_pk_fma_f32 v[12:13], v[54:55], s[2:3], v[12:13] op_sel_hi:[1,0,1]
	v_pk_mul_f32 v[64:65], v[62:63], s[10:11]
	v_pk_add_f32 v[14:15], v[10:11], v[12:13]
	v_pk_add_f32 v[10:11], v[10:11], v[12:13] neg_lo:[0,1] neg_hi:[0,1]
	v_mov_b32_e32 v75, v83
	v_mov_b32_e32 v12, v14
	;; [unrolled: 1-line block ×5, first 2 shown]
	ds_write_b64 v9, v[74:75] offset:1728
	ds_write2_b64 v29, v[0:1], v[12:13] offset1:36
	v_pk_add_f32 v[0:1], v[42:43], v[38:39] neg_lo:[0,1] neg_hi:[0,1]
	v_pk_add_f32 v[12:13], v[36:37], v[44:45] neg_lo:[0,1] neg_hi:[0,1]
	v_mov_b32_e32 v34, v6
	v_mov_b32_e32 v35, v5
	;; [unrolled: 1-line block ×6, first 2 shown]
	v_pk_fma_f32 v[34:35], v[12:13], s[14:15], v[34:35] op_sel_hi:[1,0,1] neg_lo:[1,0,1] neg_hi:[1,0,1]
	v_pk_fma_f32 v[36:37], v[0:1], s[12:13], v[36:37] op_sel_hi:[1,0,1] neg_lo:[1,0,1] neg_hi:[1,0,1]
	;; [unrolled: 1-line block ×4, first 2 shown]
	v_pk_add_f32 v[34:35], v[34:35], v[2:3]
	v_pk_fma_f32 v[36:37], v[54:55], s[2:3], v[36:37] op_sel_hi:[1,0,1]
	v_pk_add_f32 v[2:3], v[4:5], v[2:3]
	v_pk_fma_f32 v[0:1], v[54:55], s[2:3], v[0:1] op_sel_hi:[1,0,1]
	v_pk_add_f32 v[38:39], v[34:35], v[36:37]
	v_pk_add_f32 v[34:35], v[34:35], v[36:37] neg_lo:[0,1] neg_hi:[0,1]
	v_pk_add_f32 v[4:5], v[2:3], v[0:1] neg_lo:[0,1] neg_hi:[0,1]
	v_pk_add_f32 v[0:1], v[2:3], v[0:1]
	v_mov_b32_e32 v37, v35
	v_mov_b32_e32 v3, v1
	;; [unrolled: 1-line block ×4, first 2 shown]
	ds_write2_b64 v29, v[0:1], v[34:35] offset0:144 offset1:180
	v_mul_u32_u24_e32 v0, 6, v20
	v_mov_b32_e32 v36, v38
	v_mov_b32_e32 v2, v4
	;; [unrolled: 1-line block ×3, first 2 shown]
	v_lshlrev_b32_e32 v9, 3, v0
	ds_write2_b64 v29, v[36:37], v[2:3] offset0:72 offset1:108
	ds_write_b64 v29, v[10:11] offset:1728
	s_waitcnt lgkmcnt(0)
	s_barrier
	global_load_dwordx4 v[2:5], v9, s[8:9] offset:2016
	v_mul_i32_i24_e32 v0, 6, v22
	v_mov_b32_e32 v1, 0
	v_lshl_add_u64 v[6:7], v[0:1], 3, s[8:9]
	global_load_dwordx4 v[10:13], v[6:7], off offset:2016
	global_load_dwordx4 v[34:37], v[6:7], off offset:2000
	;; [unrolled: 1-line block ×3, first 2 shown]
	global_load_dwordx4 v[42:45], v9, s[8:9] offset:2000
	global_load_dwordx4 v[54:57], v9, s[8:9] offset:2032
	ds_read_b64 v[6:7], v25
	ds_read_b64 v[14:15], v50
	;; [unrolled: 1-line block ×3, first 2 shown]
	ds_read2_b64 v[58:61], v27 offset0:114 offset1:240
	ds_read2_b64 v[62:65], v31 offset0:110 offset1:236
	;; [unrolled: 1-line block ×4, first 2 shown]
	ds_read_b64 v[74:75], v51
	ds_read_b64 v[76:77], v52
	ds_read_b64 v[78:79], v25 offset:13104
	s_waitcnt lgkmcnt(0)
	s_barrier
	s_waitcnt vmcnt(5)
	v_mul_f32_e32 v0, v3, v46
	v_mul_f32_e32 v80, v2, v46
	v_fma_f32 v2, v2, v47, -v0
	v_mul_f32_e32 v0, v5, v60
	v_mul_f32_e32 v46, v4, v60
	v_fma_f32 v4, v4, v61, -v0
	s_waitcnt vmcnt(4)
	v_mov_b32_e32 v0, v11
	v_pk_mul_f32 v[88:89], v[58:59], v[10:11] op_sel:[1,0] op_sel_hi:[0,1]
	v_pk_mul_f32 v[86:87], v[58:59], v[0:1] op_sel:[1,0] op_sel_hi:[0,1]
	v_mov_b32_e32 v0, v89
	v_mul_f32_e32 v84, v5, v61
	v_pk_mul_f32 v[60:61], v[58:59], v[10:11]
	v_pk_fma_f32 v[10:11], v[58:59], v[10:11], v[0:1] op_sel:[1,0,0] op_sel_hi:[0,1,1] neg_lo:[0,0,1] neg_hi:[0,0,1]
	v_mov_b32_e32 v0, v13
	v_pk_mul_f32 v[90:91], v[62:63], v[12:13] op_sel:[1,0] op_sel_hi:[0,1]
	v_pk_mul_f32 v[88:89], v[62:63], v[0:1] op_sel:[1,0] op_sel_hi:[0,1]
	v_mov_b32_e32 v0, v91
	v_pk_mul_f32 v[58:59], v[62:63], v[12:13]
	v_pk_fma_f32 v[12:13], v[62:63], v[12:13], v[0:1] op_sel:[1,0,0] op_sel_hi:[0,1,1] neg_lo:[0,0,1] neg_hi:[0,0,1]
	v_mov_b32_e32 v0, v71
	s_waitcnt vmcnt(3)
	v_pk_mul_f32 v[62:63], v[70:71], v[34:35] op_sel_hi:[0,1]
	v_pk_fma_f32 v[90:91], v[0:1], v[34:35], v[62:63] op_sel:[0,0,1] op_sel_hi:[1,1,0] neg_lo:[0,0,1] neg_hi:[0,0,1]
	v_pk_fma_f32 v[34:35], v[70:71], v[34:35], v[62:63] op_sel:[1,0,1] op_sel_hi:[1,1,0]
	v_mov_b32_e32 v0, v73
	v_mov_b32_e32 v91, v35
	v_pk_mul_f32 v[34:35], v[72:73], v[36:37] op_sel_hi:[0,1]
	v_pk_fma_f32 v[62:63], v[0:1], v[36:37], v[34:35] op_sel:[0,0,1] op_sel_hi:[1,1,0] neg_lo:[0,0,1] neg_hi:[0,0,1]
	v_pk_fma_f32 v[34:35], v[72:73], v[36:37], v[34:35] op_sel:[1,0,1] op_sel_hi:[1,1,0]
	v_mov_b32_e32 v0, v67
	v_mov_b32_e32 v63, v35
	s_waitcnt vmcnt(2)
	v_pk_mul_f32 v[34:35], v[66:67], v[38:39] op_sel_hi:[0,1]
	v_pk_fma_f32 v[36:37], v[0:1], v[38:39], v[34:35] op_sel:[0,0,1] op_sel_hi:[1,1,0] neg_lo:[0,0,1] neg_hi:[0,0,1]
	v_pk_fma_f32 v[34:35], v[66:67], v[38:39], v[34:35] op_sel:[1,0,1] op_sel_hi:[1,1,0]
	v_mov_b32_e32 v0, v79
	v_mov_b32_e32 v37, v35
	v_pk_mul_f32 v[34:35], v[78:79], v[40:41] op_sel_hi:[0,1]
	v_pk_fma_f32 v[38:39], v[0:1], v[40:41], v[34:35] op_sel:[0,0,1] op_sel_hi:[1,1,0] neg_lo:[0,0,1] neg_hi:[0,0,1]
	v_pk_fma_f32 v[34:35], v[78:79], v[40:41], v[34:35] op_sel:[1,0,1] op_sel_hi:[1,1,0]
	v_mov_b32_e32 v61, v62
	v_mov_b32_e32 v87, v36
	;; [unrolled: 1-line block ×3, first 2 shown]
	s_waitcnt vmcnt(1)
	v_pk_mul_f32 v[78:79], v[42:43], v[74:75] op_sel_hi:[1,0]
	v_pk_add_f32 v[66:67], v[62:63], v[36:37]
	v_pk_add_f32 v[70:71], v[62:63], v[36:37] neg_lo:[0,1] neg_hi:[0,1]
	v_pk_add_f32 v[36:37], v[60:61], v[86:87]
	v_pk_fma_f32 v[86:87], v[42:43], v[0:1], v[78:79] op_sel:[0,0,1] op_sel_hi:[1,1,0] neg_lo:[0,0,1] neg_hi:[0,0,1]
	v_pk_fma_f32 v[42:43], v[42:43], v[74:75], v[78:79] op_sel:[0,1,1] op_sel_hi:[1,1,0]
	v_mov_b32_e32 v0, v15
	v_mov_b32_e32 v87, v43
	v_pk_mul_f32 v[42:43], v[44:45], v[14:15] op_sel_hi:[1,0]
	v_mul_f32_e32 v82, v3, v47
	v_pk_fma_f32 v[74:75], v[44:45], v[0:1], v[42:43] op_sel:[0,0,1] op_sel_hi:[1,1,0] neg_lo:[0,0,1] neg_hi:[0,0,1]
	v_pk_fma_f32 v[14:15], v[44:45], v[14:15], v[42:43] op_sel:[0,1,1] op_sel_hi:[1,1,0]
	v_mov_b32_e32 v0, v65
	v_mov_b32_e32 v75, v15
	s_waitcnt vmcnt(0)
	v_pk_mul_f32 v[14:15], v[54:55], v[64:65] op_sel_hi:[1,0]
	v_mov_b32_e32 v47, v86
	v_pk_fma_f32 v[42:43], v[54:55], v[0:1], v[14:15] op_sel:[0,0,1] op_sel_hi:[1,1,0] neg_lo:[0,0,1] neg_hi:[0,0,1]
	v_pk_fma_f32 v[14:15], v[54:55], v[64:65], v[14:15] op_sel:[0,1,1] op_sel_hi:[1,1,0]
	v_mov_b32_e32 v0, v69
	v_mov_b32_e32 v43, v15
	v_pk_mul_f32 v[14:15], v[68:69], v[56:57] op_sel_hi:[0,1]
	v_pk_fma_f32 v[44:45], v[0:1], v[56:57], v[14:15] op_sel:[0,0,1] op_sel_hi:[1,1,0] neg_lo:[0,0,1] neg_hi:[0,0,1]
	v_pk_fma_f32 v[14:15], v[68:69], v[56:57], v[14:15] op_sel:[1,0,1] op_sel_hi:[1,1,0]
	v_mov_b32_e32 v85, v44
	v_mov_b32_e32 v45, v15
	;; [unrolled: 1-line block ×4, first 2 shown]
	v_pk_add_f32 v[14:15], v[86:87], v[44:45]
	v_pk_add_f32 v[54:55], v[86:87], v[44:45] neg_lo:[0,1] neg_hi:[0,1]
	v_pk_add_f32 v[56:57], v[74:75], v[42:43]
	v_pk_add_f32 v[64:65], v[74:75], v[42:43] neg_lo:[0,1] neg_hi:[0,1]
	v_pk_add_f32 v[44:45], v[46:47], v[84:85]
	v_pk_add_f32 v[42:43], v[80:81], v[82:83]
	v_mov_b32_e32 v5, v44
	v_mov_b32_e32 v3, v42
	v_pk_add_f32 v[46:47], v[4:5], v[2:3] neg_lo:[0,1] neg_hi:[0,1]
	v_mov_b32_e32 v80, v57
	v_mov_b32_e32 v81, v2
	;; [unrolled: 1-line block ×4, first 2 shown]
	v_pk_add_f32 v[2:3], v[80:81], v[2:3]
	v_pk_add_f32 v[4:5], v[42:43], v[44:45]
	v_mov_b32_e32 v68, v46
	v_mov_b32_e32 v69, v55
	;; [unrolled: 1-line block ×6, first 2 shown]
	v_pk_add_f32 v[68:69], v[68:69], v[74:75] neg_lo:[0,1] neg_hi:[0,1]
	v_mov_b32_e32 v74, v54
	v_mov_b32_e32 v78, v46
	;; [unrolled: 1-line block ×3, first 2 shown]
	v_pk_add_f32 v[80:81], v[44:45], v[80:81] neg_lo:[0,1] neg_hi:[0,1]
	v_mov_b32_e32 v82, v15
	v_mov_b32_e32 v83, v3
	;; [unrolled: 1-line block ×3, first 2 shown]
	v_pk_add_f32 v[2:3], v[2:3], v[4:5]
	v_pk_mul_f32 v[68:69], v[68:69], s[20:21]
	v_pk_add_f32 v[74:75], v[74:75], v[78:79] neg_lo:[0,1] neg_hi:[0,1]
	v_pk_add_f32 v[46:47], v[46:47], v[64:65]
	v_pk_add_f32 v[82:83], v[82:83], v[42:43] neg_lo:[0,1] neg_hi:[0,1]
	v_pk_add_f32 v[4:5], v[2:3], v[6:7]
	v_pk_mul_f32 v[6:7], v[80:81], s[18:19]
	v_pk_mul_f32 v[78:79], v[74:75], s[10:11]
	v_pk_add_f32 v[46:47], v[46:47], v[54:55]
	v_pk_mul_f32 v[80:81], v[82:83], s[22:23]
	v_pk_fma_f32 v[2:3], v[2:3], s[16:17], v[4:5] op_sel_hi:[1,0,1] neg_lo:[1,0,0] neg_hi:[1,0,0]
	v_pk_fma_f32 v[82:83], v[82:83], s[22:23], v[6:7]
	v_pk_fma_f32 v[74:75], v[74:75], s[10:11], v[68:69]
	v_pk_add_f32 v[82:83], v[82:83], v[2:3]
	v_pk_fma_f32 v[74:75], v[46:47], s[2:3], v[74:75] op_sel_hi:[1,0,1]
	v_mov_b32_e32 v42, v57
	v_pk_add_f32 v[84:85], v[82:83], v[74:75]
	v_pk_add_f32 v[74:75], v[82:83], v[74:75] neg_lo:[0,1] neg_hi:[0,1]
	v_mov_b32_e32 v82, v84
	v_mov_b32_e32 v83, v75
	;; [unrolled: 1-line block ×3, first 2 shown]
	ds_write2_b64 v25, v[4:5], v[82:83] offset1:252
	v_pk_add_f32 v[4:5], v[64:65], v[54:55] neg_lo:[0,1] neg_hi:[0,1]
	v_pk_add_f32 v[14:15], v[42:43], v[44:45] neg_lo:[0,1] neg_hi:[0,1]
	v_mov_b32_e32 v42, v80
	v_mov_b32_e32 v43, v7
	;; [unrolled: 1-line block ×6, first 2 shown]
	v_pk_fma_f32 v[42:43], v[14:15], s[14:15], v[42:43] op_sel_hi:[1,0,1] neg_lo:[1,0,1] neg_hi:[1,0,1]
	v_pk_fma_f32 v[44:45], v[4:5], s[12:13], v[44:45] op_sel_hi:[1,0,1] neg_lo:[1,0,1] neg_hi:[1,0,1]
	;; [unrolled: 1-line block ×4, first 2 shown]
	v_pk_add_f32 v[42:43], v[42:43], v[2:3]
	v_pk_fma_f32 v[44:45], v[46:47], s[2:3], v[44:45] op_sel_hi:[1,0,1]
	v_pk_add_f32 v[2:3], v[6:7], v[2:3]
	v_pk_fma_f32 v[4:5], v[46:47], s[2:3], v[4:5] op_sel_hi:[1,0,1]
	v_pk_add_f32 v[54:55], v[42:43], v[44:45]
	v_pk_add_f32 v[42:43], v[42:43], v[44:45] neg_lo:[0,1] neg_hi:[0,1]
	v_pk_add_f32 v[6:7], v[2:3], v[4:5] neg_lo:[0,1] neg_hi:[0,1]
	v_pk_add_f32 v[2:3], v[2:3], v[4:5]
	v_mov_b32_e32 v39, v35
	v_mov_b32_e32 v59, v90
	;; [unrolled: 1-line block ×7, first 2 shown]
	v_add_u32_e32 v0, 0xfc0, v25
	v_pk_add_f32 v[34:35], v[90:91], v[38:39]
	v_pk_add_f32 v[40:41], v[90:91], v[38:39] neg_lo:[0,1] neg_hi:[0,1]
	v_pk_add_f32 v[38:39], v[58:59], v[88:89]
	ds_write2_b64 v0, v[44:45], v[4:5] offset1:252
	v_mov_b32_e32 v3, v7
	v_mov_b32_e32 v43, v55
	v_add_u32_e32 v0, 0x1f80, v25
	v_mov_b32_e32 v13, v38
	v_mov_b32_e32 v11, v36
	ds_write2_b64 v0, v[2:3], v[42:43] offset1:252
	v_mov_b32_e32 v2, v67
	v_mov_b32_e32 v3, v10
	;; [unrolled: 1-line block ×4, first 2 shown]
	v_pk_add_f32 v[58:59], v[12:13], v[10:11] neg_lo:[0,1] neg_hi:[0,1]
	v_pk_add_f32 v[2:3], v[2:3], v[4:5]
	v_pk_add_f32 v[4:5], v[36:37], v[38:39]
	v_mov_b32_e32 v60, v58
	v_mov_b32_e32 v61, v41
	v_mov_b32_e32 v62, v70
	v_mov_b32_e32 v63, v59
	v_mov_b32_e32 v38, v4
	v_mov_b32_e32 v6, v67
	v_mov_b32_e32 v7, v3
	v_pk_add_f32 v[60:61], v[60:61], v[62:63] neg_lo:[0,1] neg_hi:[0,1]
	v_mov_b32_e32 v62, v40
	v_mov_b32_e32 v72, v58
	;; [unrolled: 1-line block ×3, first 2 shown]
	v_pk_add_f32 v[6:7], v[38:39], v[6:7] neg_lo:[0,1] neg_hi:[0,1]
	v_mov_b32_e32 v10, v35
	v_mov_b32_e32 v11, v3
	;; [unrolled: 1-line block ×3, first 2 shown]
	v_pk_add_f32 v[2:3], v[2:3], v[4:5]
	v_pk_mul_f32 v[60:61], v[60:61], s[20:21]
	v_pk_add_f32 v[62:63], v[62:63], v[72:73] neg_lo:[0,1] neg_hi:[0,1]
	v_pk_add_f32 v[58:59], v[58:59], v[70:71]
	v_pk_add_f32 v[10:11], v[10:11], v[36:37] neg_lo:[0,1] neg_hi:[0,1]
	v_pk_add_f32 v[4:5], v[2:3], v[76:77]
	v_pk_mul_f32 v[6:7], v[6:7], s[18:19]
	v_pk_add_f32 v[58:59], v[58:59], v[40:41]
	v_pk_mul_f32 v[12:13], v[10:11], s[22:23]
	v_pk_fma_f32 v[2:3], v[2:3], s[16:17], v[4:5] op_sel_hi:[1,0,1] neg_lo:[1,0,0] neg_hi:[1,0,0]
	v_pk_fma_f32 v[10:11], v[10:11], s[22:23], v[6:7]
	v_pk_fma_f32 v[14:15], v[62:63], s[10:11], v[60:61]
	v_pk_add_f32 v[10:11], v[10:11], v[2:3]
	v_pk_fma_f32 v[14:15], v[58:59], s[2:3], v[14:15] op_sel_hi:[1,0,1]
	v_pk_mul_f32 v[72:73], v[62:63], s[10:11]
	v_pk_add_f32 v[42:43], v[10:11], v[14:15]
	v_pk_add_f32 v[10:11], v[10:11], v[14:15] neg_lo:[0,1] neg_hi:[0,1]
	v_mov_b32_e32 v75, v85
	v_mov_b32_e32 v14, v42
	v_mov_b32_e32 v15, v11
	v_mov_b32_e32 v36, v67
	v_mov_b32_e32 v38, v35
	ds_write_b64 v25, v[74:75] offset:12096
	ds_write2_b64 v52, v[4:5], v[14:15] offset1:252
	v_pk_add_f32 v[4:5], v[70:71], v[40:41] neg_lo:[0,1] neg_hi:[0,1]
	v_pk_add_f32 v[14:15], v[36:37], v[38:39] neg_lo:[0,1] neg_hi:[0,1]
	v_mov_b32_e32 v34, v12
	v_mov_b32_e32 v35, v7
	;; [unrolled: 1-line block ×6, first 2 shown]
	v_pk_fma_f32 v[34:35], v[14:15], s[14:15], v[34:35] op_sel_hi:[1,0,1] neg_lo:[1,0,1] neg_hi:[1,0,1]
	v_pk_fma_f32 v[36:37], v[4:5], s[12:13], v[36:37] op_sel_hi:[1,0,1] neg_lo:[1,0,1] neg_hi:[1,0,1]
	;; [unrolled: 1-line block ×4, first 2 shown]
	v_pk_add_f32 v[34:35], v[34:35], v[2:3]
	v_pk_fma_f32 v[36:37], v[58:59], s[2:3], v[36:37] op_sel_hi:[1,0,1]
	v_pk_add_f32 v[2:3], v[6:7], v[2:3]
	v_pk_fma_f32 v[4:5], v[58:59], s[2:3], v[4:5] op_sel_hi:[1,0,1]
	v_pk_add_f32 v[38:39], v[34:35], v[36:37]
	v_pk_add_f32 v[34:35], v[34:35], v[36:37] neg_lo:[0,1] neg_hi:[0,1]
	v_pk_add_f32 v[6:7], v[2:3], v[4:5] neg_lo:[0,1] neg_hi:[0,1]
	v_pk_add_f32 v[2:3], v[2:3], v[4:5]
	v_mov_b32_e32 v36, v38
	v_mov_b32_e32 v37, v35
	;; [unrolled: 1-line block ×4, first 2 shown]
	v_add_u32_e32 v0, 0xfc0, v52
	ds_write2_b64 v0, v[36:37], v[4:5] offset1:252
	v_mov_b32_e32 v3, v7
	v_mov_b32_e32 v35, v39
	v_add_u32_e32 v0, 0x1f80, v52
	v_mov_b32_e32 v11, v43
	ds_write2_b64 v0, v[2:3], v[34:35] offset1:252
	ds_write_b64 v52, v[10:11] offset:12096
	s_waitcnt lgkmcnt(0)
	s_barrier
	ds_read_b64 v[6:7], v25
	s_add_u32 s2, s8, 0x3710
	s_addc_u32 s3, s9, 0
	v_sub_u32_e32 v0, 0, v21
                                        ; implicit-def: $vgpr5
                                        ; implicit-def: $vgpr2_vgpr3
	s_and_saveexec_b64 s[8:9], vcc
	s_xor_b64 s[8:9], exec, s[8:9]
	s_cbranch_execz .LBB0_23
; %bb.22:
	v_mov_b32_e32 v21, v1
	v_lshl_add_u64 v[2:3], v[20:21], 3, s[2:3]
	global_load_dwordx2 v[2:3], v[2:3], off
	ds_read_b64 v[4:5], v0 offset:14112
	v_mov_b32_e32 v11, 0.5
	v_mov_b32_e32 v12, v11
	s_waitcnt lgkmcnt(0)
	v_pk_add_f32 v[14:15], v[4:5], v[6:7]
	v_pk_add_f32 v[4:5], v[6:7], v[4:5] neg_lo:[0,1] neg_hi:[0,1]
	v_mov_b32_e32 v6, v15
	v_mov_b32_e32 v7, v4
	v_pk_mul_f32 v[6:7], v[6:7], 0.5 op_sel_hi:[1,0]
	s_waitcnt vmcnt(0)
	v_mov_b32_e32 v10, v3
	v_mov_b32_e32 v4, v7
	;; [unrolled: 1-line block ×4, first 2 shown]
	v_pk_mul_f32 v[4:5], v[10:11], v[4:5]
	v_pk_mul_f32 v[34:35], v[2:3], v[6:7] op_sel_hi:[0,1]
	v_pk_fma_f32 v[10:11], v[14:15], v[12:13], v[4:5]
	v_pk_fma_f32 v[12:13], v[14:15], v[12:13], v[4:5] neg_lo:[0,0,1] neg_hi:[0,0,1]
	v_pk_fma_f32 v[4:5], v[2:3], v[6:7], v[10:11] op_sel_hi:[0,1,1] neg_lo:[1,0,0] neg_hi:[1,0,0]
	v_pk_fma_f32 v[2:3], v[2:3], v[6:7], v[12:13] op_sel_hi:[0,1,1] neg_lo:[1,0,0] neg_hi:[1,0,0]
	v_add_f32_e32 v4, v10, v34
                                        ; implicit-def: $vgpr6_vgpr7
.LBB0_23:
	s_or_saveexec_b64 s[8:9], s[8:9]
	v_sub_u32_e32 v1, 0, v23
	s_xor_b64 exec, exec, s[8:9]
	s_cbranch_execz .LBB0_25
; %bb.24:
	s_waitcnt lgkmcnt(0)
	v_mov_b32_e32 v2, v7
	v_pk_add_f32 v[2:3], v[6:7], v[2:3] neg_lo:[0,1] neg_hi:[0,1]
	v_add_f32_e32 v4, v7, v6
	v_mov_b32_e32 v3, 0
	ds_read_b32 v5, v3 offset:7060
	s_waitcnt lgkmcnt(0)
	v_xor_b32_e32 v5, 0x80000000, v5
	ds_write_b32 v3, v5 offset:7060
	v_mov_b32_e32 v5, v3
.LBB0_25:
	s_or_b64 exec, exec, s[8:9]
	v_mov_b32_e32 v23, 0
	s_waitcnt lgkmcnt(0)
	v_lshl_add_u64 v[6:7], v[22:23], 3, s[2:3]
	global_load_dwordx2 v[6:7], v[6:7], off
	v_mov_b32_e32 v29, v23
	v_lshl_add_u64 v[10:11], v[28:29], 3, s[2:3]
	global_load_dwordx2 v[10:11], v[10:11], off
	v_mov_b32_e32 v33, v23
	;; [unrolled: 3-line block ×4, first 2 shown]
	ds_write_b64 v25, v[4:5]
	ds_write_b64 v0, v[2:3] offset:14112
	v_lshl_add_u64 v[26:27], v[26:27], 3, s[2:3]
	ds_read_b64 v[4:5], v52
	ds_read_b64 v[28:29], v0 offset:13104
	global_load_dwordx2 v[26:27], v[26:27], off
	v_mov_b32_e32 v3, 0.5
	v_mov_b32_e32 v30, v3
	v_mov_b32_e32 v25, v23
	s_waitcnt lgkmcnt(0)
	v_pk_add_f32 v[34:35], v[4:5], v[28:29]
	v_pk_add_f32 v[4:5], v[4:5], v[28:29] neg_lo:[0,1] neg_hi:[0,1]
	v_mov_b32_e32 v28, v35
	v_mov_b32_e32 v29, v4
	v_pk_mul_f32 v[28:29], v[28:29], 0.5 op_sel_hi:[1,0]
	v_lshl_add_u64 v[24:25], v[24:25], 3, s[2:3]
	v_mov_b32_e32 v35, v28
	v_mov_b32_e32 v4, v29
	;; [unrolled: 1-line block ×3, first 2 shown]
	v_add_u32_e32 v1, v49, v1
	s_waitcnt vmcnt(4)
	v_mov_b32_e32 v31, v7
	v_mov_b32_e32 v2, v7
	v_pk_mul_f32 v[30:31], v[34:35], v[30:31]
	s_waitcnt vmcnt(3)
	v_mov_b32_e32 v33, v11
	v_pk_fma_f32 v[34:35], v[2:3], v[4:5], v[30:31] neg_lo:[1,0,0] neg_hi:[1,0,0]
	v_pk_fma_f32 v[4:5], v[2:3], v[4:5], v[30:31]
	v_pk_fma_f32 v[30:31], v[6:7], v[28:29], v[34:35] op_sel_hi:[0,1,1] neg_lo:[1,0,0] neg_hi:[1,0,0]
	v_pk_fma_f32 v[34:35], v[6:7], v[28:29], v[4:5] op_sel_hi:[0,1,1]
	v_pk_fma_f32 v[4:5], v[6:7], v[28:29], v[4:5] op_sel_hi:[0,1,1] neg_lo:[1,0,0] neg_hi:[1,0,0]
	v_mov_b32_e32 v35, v5
	ds_write_b64 v52, v[34:35]
	ds_write_b64 v0, v[30:31] offset:13104
	ds_read_b64 v[4:5], v51
	ds_read_b64 v[6:7], v0 offset:12096
	global_load_dwordx2 v[24:25], v[24:25], off
	v_mov_b32_e32 v2, v11
	s_waitcnt lgkmcnt(0)
	v_pk_add_f32 v[28:29], v[4:5], v[6:7]
	v_pk_add_f32 v[4:5], v[4:5], v[6:7] neg_lo:[0,1] neg_hi:[0,1]
	v_mov_b32_e32 v6, v29
	v_mov_b32_e32 v7, v4
	v_pk_mul_f32 v[6:7], v[6:7], 0.5 op_sel_hi:[1,0]
	s_nop 0
	v_mov_b32_e32 v29, v6
	v_mov_b32_e32 v4, v7
	v_pk_mul_f32 v[28:29], v[28:29], v[32:33]
	s_nop 0
	v_pk_fma_f32 v[30:31], v[2:3], v[4:5], v[28:29] neg_lo:[1,0,0] neg_hi:[1,0,0]
	v_pk_fma_f32 v[4:5], v[2:3], v[4:5], v[28:29]
	v_pk_fma_f32 v[28:29], v[10:11], v[6:7], v[30:31] op_sel_hi:[0,1,1] neg_lo:[1,0,0] neg_hi:[1,0,0]
	v_pk_fma_f32 v[30:31], v[10:11], v[6:7], v[4:5] op_sel_hi:[0,1,1]
	v_pk_fma_f32 v[4:5], v[10:11], v[6:7], v[4:5] op_sel_hi:[0,1,1] neg_lo:[1,0,0] neg_hi:[1,0,0]
	v_mov_b32_e32 v31, v5
	ds_write_b64 v51, v[30:31]
	ds_write_b64 v0, v[28:29] offset:12096
	ds_read_b64 v[4:5], v48
	ds_read_b64 v[6:7], v0 offset:11088
	v_mov_b32_e32 v10, v3
	s_waitcnt vmcnt(3)
	v_mov_b32_e32 v11, v13
	v_mov_b32_e32 v2, v13
	s_waitcnt lgkmcnt(0)
	v_pk_add_f32 v[28:29], v[4:5], v[6:7]
	v_pk_add_f32 v[4:5], v[4:5], v[6:7] neg_lo:[0,1] neg_hi:[0,1]
	v_mov_b32_e32 v6, v29
	v_mov_b32_e32 v7, v4
	v_pk_mul_f32 v[6:7], v[6:7], 0.5 op_sel_hi:[1,0]
	s_nop 0
	v_mov_b32_e32 v29, v6
	v_mov_b32_e32 v4, v7
	v_pk_mul_f32 v[10:11], v[28:29], v[10:11]
	s_nop 0
	v_pk_fma_f32 v[28:29], v[2:3], v[4:5], v[10:11] neg_lo:[1,0,0] neg_hi:[1,0,0]
	v_pk_fma_f32 v[4:5], v[2:3], v[4:5], v[10:11]
	v_pk_fma_f32 v[10:11], v[12:13], v[6:7], v[28:29] op_sel_hi:[0,1,1] neg_lo:[1,0,0] neg_hi:[1,0,0]
	v_pk_fma_f32 v[28:29], v[12:13], v[6:7], v[4:5] op_sel_hi:[0,1,1]
	v_pk_fma_f32 v[4:5], v[12:13], v[6:7], v[4:5] op_sel_hi:[0,1,1] neg_lo:[1,0,0] neg_hi:[1,0,0]
	v_mov_b32_e32 v29, v5
	ds_write_b64 v48, v[28:29]
	ds_write_b64 v0, v[10:11] offset:11088
	ds_read_b64 v[4:5], v50
	ds_read_b64 v[6:7], v0 offset:10080
	v_mov_b32_e32 v10, v3
	s_waitcnt vmcnt(2)
	v_mov_b32_e32 v11, v15
	;; [unrolled: 25-line block ×4, first 2 shown]
	v_mov_b32_e32 v2, v25
	s_waitcnt lgkmcnt(0)
	v_pk_add_f32 v[12:13], v[4:5], v[6:7]
	v_pk_add_f32 v[4:5], v[4:5], v[6:7] neg_lo:[0,1] neg_hi:[0,1]
	v_mov_b32_e32 v6, v13
	v_mov_b32_e32 v7, v4
	v_pk_mul_f32 v[6:7], v[6:7], 0.5 op_sel_hi:[1,0]
	s_nop 0
	v_mov_b32_e32 v13, v6
	v_mov_b32_e32 v4, v7
	v_pk_mul_f32 v[10:11], v[12:13], v[10:11]
	s_nop 0
	v_pk_fma_f32 v[12:13], v[2:3], v[4:5], v[10:11] neg_lo:[1,0,0] neg_hi:[1,0,0]
	v_pk_fma_f32 v[2:3], v[2:3], v[4:5], v[10:11]
	v_pk_fma_f32 v[4:5], v[24:25], v[6:7], v[12:13] op_sel_hi:[0,1,1] neg_lo:[1,0,0] neg_hi:[1,0,0]
	v_pk_fma_f32 v[10:11], v[24:25], v[6:7], v[2:3] op_sel_hi:[0,1,1]
	v_pk_fma_f32 v[2:3], v[24:25], v[6:7], v[2:3] op_sel_hi:[0,1,1] neg_lo:[1,0,0] neg_hi:[1,0,0]
	v_mov_b32_e32 v11, v3
	ds_write_b64 v8, v[10:11]
	ds_write_b64 v0, v[4:5] offset:8064
	s_waitcnt lgkmcnt(0)
	s_barrier
	s_and_saveexec_b64 s[2:3], s[0:1]
	s_cbranch_execz .LBB0_28
; %bb.26:
	v_mul_lo_u32 v2, s5, v18
	v_mul_lo_u32 v3, s4, v19
	v_mad_u64_u32 v[0:1], s[0:1], s4, v18, 0
	v_lshl_add_u32 v10, v20, 3, 0
	v_add3_u32 v1, v1, v3, v2
	ds_read2_b64 v[2:5], v10 offset1:126
	v_lshl_add_u64 v[0:1], v[0:1], 3, s[6:7]
	v_mov_b32_e32 v21, v23
	v_lshl_add_u64 v[0:1], v[16:17], 3, v[0:1]
	v_lshl_add_u64 v[6:7], v[20:21], 3, v[0:1]
	s_waitcnt lgkmcnt(0)
	global_store_dwordx2 v[6:7], v[2:3], off
	v_add_u32_e32 v2, 0x400, v10
	ds_read2_b64 v[6:9], v2 offset0:124 offset1:250
	v_add_u32_e32 v22, 0x7e, v20
	v_lshl_add_u64 v[2:3], v[22:23], 3, v[0:1]
	v_add_u32_e32 v22, 0xfc, v20
	global_store_dwordx2 v[2:3], v[4:5], off
	v_lshl_add_u64 v[2:3], v[22:23], 3, v[0:1]
	s_waitcnt lgkmcnt(0)
	global_store_dwordx2 v[2:3], v[6:7], off
	v_add_u32_e32 v2, 0xc00, v10
	ds_read2_b64 v[2:5], v2 offset0:120 offset1:246
	v_add_u32_e32 v22, 0x17a, v20
	v_lshl_add_u64 v[6:7], v[22:23], 3, v[0:1]
	v_add_u32_e32 v22, 0x1f8, v20
	global_store_dwordx2 v[6:7], v[8:9], off
	;; [unrolled: 9-line block ×6, first 2 shown]
	v_lshl_add_u64 v[6:7], v[22:23], 3, v[0:1]
	v_add_u32_e32 v22, 0x666, v20
	s_movk_i32 s0, 0x7d
	s_waitcnt lgkmcnt(0)
	global_store_dwordx2 v[6:7], v[2:3], off
	v_lshl_add_u64 v[2:3], v[22:23], 3, v[0:1]
	v_cmp_eq_u32_e32 vcc, s0, v20
	global_store_dwordx2 v[2:3], v[4:5], off
	s_and_b64 exec, exec, vcc
	s_cbranch_execz .LBB0_28
; %bb.27:
	v_mov_b32_e32 v2, 0
	ds_read_b64 v[2:3], v2 offset:14112
	v_add_co_u32_e32 v0, vcc, 0x3000, v0
	s_nop 1
	v_addc_co_u32_e32 v1, vcc, 0, v1, vcc
	s_waitcnt lgkmcnt(0)
	global_store_dwordx2 v[0:1], v[2:3], off offset:1824
.LBB0_28:
	s_endpgm
	.section	.rodata,"a",@progbits
	.p2align	6, 0x0
	.amdhsa_kernel fft_rtc_back_len1764_factors_2_2_3_3_7_7_wgs_126_tpt_126_halfLds_sp_op_CI_CI_unitstride_sbrr_R2C_dirReg
		.amdhsa_group_segment_fixed_size 0
		.amdhsa_private_segment_fixed_size 0
		.amdhsa_kernarg_size 104
		.amdhsa_user_sgpr_count 2
		.amdhsa_user_sgpr_dispatch_ptr 0
		.amdhsa_user_sgpr_queue_ptr 0
		.amdhsa_user_sgpr_kernarg_segment_ptr 1
		.amdhsa_user_sgpr_dispatch_id 0
		.amdhsa_user_sgpr_kernarg_preload_length 0
		.amdhsa_user_sgpr_kernarg_preload_offset 0
		.amdhsa_user_sgpr_private_segment_size 0
		.amdhsa_uses_dynamic_stack 0
		.amdhsa_enable_private_segment 0
		.amdhsa_system_sgpr_workgroup_id_x 1
		.amdhsa_system_sgpr_workgroup_id_y 0
		.amdhsa_system_sgpr_workgroup_id_z 0
		.amdhsa_system_sgpr_workgroup_info 0
		.amdhsa_system_vgpr_workitem_id 0
		.amdhsa_next_free_vgpr 99
		.amdhsa_next_free_sgpr 28
		.amdhsa_accum_offset 100
		.amdhsa_reserve_vcc 1
		.amdhsa_float_round_mode_32 0
		.amdhsa_float_round_mode_16_64 0
		.amdhsa_float_denorm_mode_32 3
		.amdhsa_float_denorm_mode_16_64 3
		.amdhsa_dx10_clamp 1
		.amdhsa_ieee_mode 1
		.amdhsa_fp16_overflow 0
		.amdhsa_tg_split 0
		.amdhsa_exception_fp_ieee_invalid_op 0
		.amdhsa_exception_fp_denorm_src 0
		.amdhsa_exception_fp_ieee_div_zero 0
		.amdhsa_exception_fp_ieee_overflow 0
		.amdhsa_exception_fp_ieee_underflow 0
		.amdhsa_exception_fp_ieee_inexact 0
		.amdhsa_exception_int_div_zero 0
	.end_amdhsa_kernel
	.text
.Lfunc_end0:
	.size	fft_rtc_back_len1764_factors_2_2_3_3_7_7_wgs_126_tpt_126_halfLds_sp_op_CI_CI_unitstride_sbrr_R2C_dirReg, .Lfunc_end0-fft_rtc_back_len1764_factors_2_2_3_3_7_7_wgs_126_tpt_126_halfLds_sp_op_CI_CI_unitstride_sbrr_R2C_dirReg
                                        ; -- End function
	.section	.AMDGPU.csdata,"",@progbits
; Kernel info:
; codeLenInByte = 10736
; NumSgprs: 34
; NumVgprs: 99
; NumAgprs: 0
; TotalNumVgprs: 99
; ScratchSize: 0
; MemoryBound: 0
; FloatMode: 240
; IeeeMode: 1
; LDSByteSize: 0 bytes/workgroup (compile time only)
; SGPRBlocks: 4
; VGPRBlocks: 12
; NumSGPRsForWavesPerEU: 34
; NumVGPRsForWavesPerEU: 99
; AccumOffset: 100
; Occupancy: 4
; WaveLimiterHint : 1
; COMPUTE_PGM_RSRC2:SCRATCH_EN: 0
; COMPUTE_PGM_RSRC2:USER_SGPR: 2
; COMPUTE_PGM_RSRC2:TRAP_HANDLER: 0
; COMPUTE_PGM_RSRC2:TGID_X_EN: 1
; COMPUTE_PGM_RSRC2:TGID_Y_EN: 0
; COMPUTE_PGM_RSRC2:TGID_Z_EN: 0
; COMPUTE_PGM_RSRC2:TIDIG_COMP_CNT: 0
; COMPUTE_PGM_RSRC3_GFX90A:ACCUM_OFFSET: 24
; COMPUTE_PGM_RSRC3_GFX90A:TG_SPLIT: 0
	.text
	.p2alignl 6, 3212836864
	.fill 256, 4, 3212836864
	.type	__hip_cuid_64cdef5cf4a97759,@object ; @__hip_cuid_64cdef5cf4a97759
	.section	.bss,"aw",@nobits
	.globl	__hip_cuid_64cdef5cf4a97759
__hip_cuid_64cdef5cf4a97759:
	.byte	0                               ; 0x0
	.size	__hip_cuid_64cdef5cf4a97759, 1

	.ident	"AMD clang version 19.0.0git (https://github.com/RadeonOpenCompute/llvm-project roc-6.4.0 25133 c7fe45cf4b819c5991fe208aaa96edf142730f1d)"
	.section	".note.GNU-stack","",@progbits
	.addrsig
	.addrsig_sym __hip_cuid_64cdef5cf4a97759
	.amdgpu_metadata
---
amdhsa.kernels:
  - .agpr_count:     0
    .args:
      - .actual_access:  read_only
        .address_space:  global
        .offset:         0
        .size:           8
        .value_kind:     global_buffer
      - .offset:         8
        .size:           8
        .value_kind:     by_value
      - .actual_access:  read_only
        .address_space:  global
        .offset:         16
        .size:           8
        .value_kind:     global_buffer
      - .actual_access:  read_only
        .address_space:  global
        .offset:         24
        .size:           8
        .value_kind:     global_buffer
      - .actual_access:  read_only
        .address_space:  global
        .offset:         32
        .size:           8
        .value_kind:     global_buffer
      - .offset:         40
        .size:           8
        .value_kind:     by_value
      - .actual_access:  read_only
        .address_space:  global
        .offset:         48
        .size:           8
        .value_kind:     global_buffer
      - .actual_access:  read_only
        .address_space:  global
        .offset:         56
        .size:           8
        .value_kind:     global_buffer
      - .offset:         64
        .size:           4
        .value_kind:     by_value
      - .actual_access:  read_only
        .address_space:  global
        .offset:         72
        .size:           8
        .value_kind:     global_buffer
      - .actual_access:  read_only
        .address_space:  global
        .offset:         80
        .size:           8
        .value_kind:     global_buffer
      - .actual_access:  read_only
        .address_space:  global
        .offset:         88
        .size:           8
        .value_kind:     global_buffer
      - .actual_access:  write_only
        .address_space:  global
        .offset:         96
        .size:           8
        .value_kind:     global_buffer
    .group_segment_fixed_size: 0
    .kernarg_segment_align: 8
    .kernarg_segment_size: 104
    .language:       OpenCL C
    .language_version:
      - 2
      - 0
    .max_flat_workgroup_size: 126
    .name:           fft_rtc_back_len1764_factors_2_2_3_3_7_7_wgs_126_tpt_126_halfLds_sp_op_CI_CI_unitstride_sbrr_R2C_dirReg
    .private_segment_fixed_size: 0
    .sgpr_count:     34
    .sgpr_spill_count: 0
    .symbol:         fft_rtc_back_len1764_factors_2_2_3_3_7_7_wgs_126_tpt_126_halfLds_sp_op_CI_CI_unitstride_sbrr_R2C_dirReg.kd
    .uniform_work_group_size: 1
    .uses_dynamic_stack: false
    .vgpr_count:     99
    .vgpr_spill_count: 0
    .wavefront_size: 64
amdhsa.target:   amdgcn-amd-amdhsa--gfx950
amdhsa.version:
  - 1
  - 2
...

	.end_amdgpu_metadata
